;; amdgpu-corpus repo=triton-lang/triton kind=triton arch=gfx1100 opt=O3 lang=triton
	.amdgcn_target "amdgcn-amd-amdhsa--gfx1100"
	.amdhsa_code_object_version 5
	.text
	.globl	_attn_bwd                       ; -- Begin function _attn_bwd
	.p2align	8
	.type	_attn_bwd,@function
_attn_bwd:                              ; @_attn_bwd
.Lfunc_begin0:
	.file	1 "/root/src/amdgpu-assembly/repos/triton-lang__triton-aot" "attention_bwd.py"
	.loc	1 126 0                         ; attention_bwd.py:126:0
	.cfi_sections .debug_frame
	.cfi_startproc
; %bb.0:
	s_clause 0x1
	s_load_b64 s[8:9], s[0:1], 0x60
	s_load_b128 s[52:55], s[0:1], 0x50
.Ltmp0:
	.loc	1 144 55 prologue_end           ; attention_bwd.py:144:55
	s_abs_i32 s5, s15
	s_clause 0x1
	s_load_b128 s[48:51], s[0:1], 0x0
	s_load_b64 s[56:57], s[0:1], 0x10
	s_waitcnt lgkmcnt(0)
	s_abs_i32 s2, s8
	s_delay_alu instid0(SALU_CYCLE_1) | instskip(SKIP_1) | instid1(VALU_DEP_1)
	v_cvt_f32_u32_e32 v1, s2
	s_sub_i32 s4, 0, s2
	v_rcp_iflag_f32_e32 v1, v1
	s_waitcnt_depctr depctr_va_vdst(0)
	v_mul_f32_e32 v1, 0x4f7ffffe, v1
	s_delay_alu instid0(VALU_DEP_1) | instskip(NEXT) | instid1(VALU_DEP_1)
	v_cvt_u32_f32_e32 v1, v1
	v_readfirstlane_b32 s3, v1
	v_mov_b32_e32 v1, v0
	s_mul_i32 s4, s4, s3
	s_delay_alu instid0(VALU_DEP_1)
	.loc	1 165 36                        ; attention_bwd.py:165:36
	v_lshrrev_b32_e32 v0, 6, v1
	.loc	1 144 55                        ; attention_bwd.py:144:55
	s_mul_hi_u32 s4, s3, s4
	v_dual_mov_b32 v42, v1 :: v_dual_and_b32 v43, 0x60, v1
	s_add_i32 s3, s3, s4
	s_xor_b32 s4, s15, s8
	s_mul_hi_u32 s3, s5, s3
	s_ashr_i32 s4, s4, 31
	s_mul_i32 s6, s3, s2
	scratch_store_b32 off, v43, off offset:1868 ; 4-byte Folded Spill
	s_sub_i32 s5, s5, s6
	s_add_i32 s6, s3, 1
	s_sub_i32 s7, s5, s2
	s_cmp_ge_u32 s5, s2
	s_cselect_b32 s3, s6, s3
	s_cselect_b32 s5, s7, s5
	s_add_i32 s6, s3, 1
	s_cmp_ge_u32 s5, s2
	s_cselect_b32 s2, s6, s3
	s_delay_alu instid0(SALU_CYCLE_1) | instskip(NEXT) | instid1(SALU_CYCLE_1)
	s_xor_b32 s2, s2, s4
	s_sub_i32 s2, s2, s4
	s_delay_alu instid0(SALU_CYCLE_1) | instskip(SKIP_2) | instid1(SALU_CYCLE_1)
	.loc	1 144 30 is_stmt 0              ; attention_bwd.py:144:30
	s_mul_i32 s3, s2, s8
	.loc	1 144 47                        ; attention_bwd.py:144:47
	s_mul_i32 s2, s2, s52
	.loc	1 144 30                        ; attention_bwd.py:144:30
	s_sub_i32 s3, s15, s3
	.loc	1 144 23                        ; attention_bwd.py:144:23
	s_mul_i32 s3, s3, s53
	s_delay_alu instid0(SALU_CYCLE_1) | instskip(NEXT) | instid1(SALU_CYCLE_1)
	.loc	1 144 35                        ; attention_bwd.py:144:35
	s_add_i32 s2, s2, s3
	.loc	1 144 62                        ; attention_bwd.py:144:62
	s_ashr_i32 s3, s2, 31
	s_delay_alu instid0(SALU_CYCLE_1) | instskip(NEXT) | instid1(SALU_CYCLE_1)
	.loc	1 148 9 is_stmt 1               ; attention_bwd.py:148:9
	s_lshl_b64 s[52:53], s[2:3], 1
	s_add_u32 s74, s48, s52
	s_addc_u32 s75, s49, s53
	.loc	1 149 9                         ; attention_bwd.py:149:9
	s_add_u32 s71, s50, s52
	s_addc_u32 s72, s51, s53
	.loc	1 150 9                         ; attention_bwd.py:150:9
	s_add_u32 s35, s56, s52
	s_addc_u32 s70, s57, s53
	.loc	1 161 20                        ; attention_bwd.py:161:20
	s_lshl_b32 s73, s14, 7
.Ltmp1:
	.loc	1 47 25                         ; attention_bwd.py:47:25 @[ attention_bwd.py:200:26 ]
	s_cmp_gt_i32 s9, 31
.Ltmp2:
	.loc	1 165 36                        ; attention_bwd.py:165:36
	v_or_b32_e32 v4, s73, v0
.Ltmp3:
	.loc	1 47 25                         ; attention_bwd.py:47:25 @[ attention_bwd.py:200:26 ]
	s_cselect_b32 s3, -1, 0
	s_cmp_lt_i32 s9, 32
	s_delay_alu instid0(VALU_DEP_1)
.Ltmp4:
	.loc	1 165 23                        ; attention_bwd.py:165:23
	v_or_b32_e32 v10, 12, v4
	v_or_b32_e32 v18, 20, v4
	;; [unrolled: 1-line block ×4, first 2 shown]
	.loc	1 171 38                        ; attention_bwd.py:171:38
	v_mul_lo_u32 v5, s54, v4
	v_mul_lo_u32 v17, s54, v10
	;; [unrolled: 1-line block ×3, first 2 shown]
	.loc	1 165 23                        ; attention_bwd.py:165:23
	v_or_b32_e32 v3, 6, v4
	v_or_b32_e32 v6, 8, v4
	.loc	1 171 38                        ; attention_bwd.py:171:38
	v_mul_lo_u32 v29, s54, v22
	v_mul_lo_u32 v9, s54, v2
	.loc	1 165 23                        ; attention_bwd.py:165:23
	v_or_b32_e32 v8, 10, v4
	v_or_b32_e32 v30, 32, v4
	.loc	1 171 20                        ; attention_bwd.py:171:20
	v_ashrrev_i32_e32 v18, 31, v17
	.loc	1 171 38 is_stmt 0              ; attention_bwd.py:171:38
	v_mul_lo_u32 v11, s54, v3
	.loc	1 165 23 is_stmt 1              ; attention_bwd.py:165:23
	v_or_b32_e32 v34, 36, v4
	v_or_b32_e32 v36, 38, v4
	.loc	1 171 38                        ; attention_bwd.py:171:38
	v_mul_lo_u32 v13, s54, v6
	.loc	1 171 20 is_stmt 0              ; attention_bwd.py:171:20
	v_lshlrev_b64 v[44:45], 1, v[17:18]
	scratch_store_b32 off, v0, off          ; 4-byte Folded Spill
	.loc	1 165 36 is_stmt 1              ; attention_bwd.py:165:36
	v_and_b32_e32 v0, 15, v1
	.loc	1 165 23 is_stmt 0              ; attention_bwd.py:165:23
	v_or_b32_e32 v1, 2, v4
	.loc	1 171 20 is_stmt 1              ; attention_bwd.py:171:20
	v_ashrrev_i32_e32 v6, 31, v5
	.loc	1 165 23                        ; attention_bwd.py:165:23
	v_or_b32_e32 v12, 14, v4
	.loc	1 171 38                        ; attention_bwd.py:171:38
	v_mul_lo_u32 v15, s54, v8
	.loc	1 165 23                        ; attention_bwd.py:165:23
	v_or_b32_e32 v14, 16, v4
	.loc	1 171 38                        ; attention_bwd.py:171:38
	v_mul_lo_u32 v7, s54, v1
	v_mul_lo_u32 v37, s54, v30
	.loc	1 171 20 is_stmt 0              ; attention_bwd.py:171:20
	v_ashrrev_i32_e32 v30, 31, v29
	v_ashrrev_i32_e32 v10, 31, v9
	.loc	1 165 23 is_stmt 1              ; attention_bwd.py:165:23
	v_or_b32_e32 v16, 18, v4
	.loc	1 171 38                        ; attention_bwd.py:171:38
	v_mul_lo_u32 v41, s54, v34
	v_mul_lo_u32 v2, s54, v36
	.loc	1 171 20 is_stmt 0              ; attention_bwd.py:171:20
	v_lshlrev_b64 v[164:165], 1, v[5:6]
	v_ashrrev_i32_e32 v8, 31, v7
	.loc	1 171 38                        ; attention_bwd.py:171:38
	v_mul_lo_u32 v19, s54, v12
	.loc	1 171 20                        ; attention_bwd.py:171:20
	v_ashrrev_i32_e32 v12, 31, v11
	.loc	1 171 38                        ; attention_bwd.py:171:38
	v_mul_lo_u32 v21, s54, v14
	.loc	1 171 20                        ; attention_bwd.py:171:20
	v_ashrrev_i32_e32 v14, 31, v13
	v_lshlrev_b64 v[166:167], 1, v[7:8]
	v_lshlrev_b64 v[172:173], 1, v[29:30]
	v_mov_b32_e32 v29, v42
	v_lshlrev_b64 v[52:53], 1, v[9:10]
	.loc	1 171 38                        ; attention_bwd.py:171:38
	v_mul_lo_u32 v23, s54, v16
	.loc	1 171 20                        ; attention_bwd.py:171:20
	v_ashrrev_i32_e32 v16, 31, v15
	v_lshlrev_b64 v[50:51], 1, v[11:12]
	v_add_co_u32 v6, vcc_lo, s71, v164
	.loc	1 165 23 is_stmt 1              ; attention_bwd.py:165:23
	v_or_b32_e32 v20, 22, v4
	.loc	1 171 20                        ; attention_bwd.py:171:20
	v_lshlrev_b64 v[48:49], 1, v[13:14]
	v_add_co_ci_u32_e64 v8, null, s72, v165, vcc_lo
	v_add_co_u32 v9, vcc_lo, s71, v166
	v_ashrrev_i32_e32 v42, 31, v41
	v_ashrrev_i32_e32 v3, 31, v2
	.loc	1 171 16 is_stmt 0              ; attention_bwd.py:171:16
	v_lshlrev_b32_e32 v7, 4, v29
	.loc	1 171 20                        ; attention_bwd.py:171:20
	v_lshlrev_b64 v[46:47], 1, v[15:16]
	v_add_co_ci_u32_e64 v10, null, s72, v167, vcc_lo
	v_add_co_u32 v11, vcc_lo, s71, v52
	s_delay_alu instid0(VALU_DEP_1)
	v_add_co_ci_u32_e64 v12, null, s72, v53, vcc_lo
	v_add_co_u32 v13, vcc_lo, s71, v50
	.loc	1 171 38                        ; attention_bwd.py:171:38
	v_mul_lo_u32 v27, s54, v20
	.loc	1 171 20                        ; attention_bwd.py:171:20
	v_ashrrev_i32_e32 v20, 31, v19
	v_lshlrev_b64 v[184:185], 1, v[41:42]
	v_lshlrev_b64 v[186:187], 1, v[2:3]
	.loc	1 171 16                        ; attention_bwd.py:171:16
	v_lshlrev_b32_e32 v3, 7, v0
	v_lshlrev_b32_e32 v41, 6, v43
	v_and_b32_e32 v7, 0x70, v7
	.loc	1 171 20                        ; attention_bwd.py:171:20
	v_add_co_ci_u32_e64 v14, null, s72, v51, vcc_lo
	v_add_co_u32 v15, vcc_lo, s71, v48
	.loc	1 165 23 is_stmt 1              ; attention_bwd.py:165:23
	v_or_b32_e32 v24, 26, v4
	.loc	1 171 20                        ; attention_bwd.py:171:20
	v_add_co_ci_u32_e64 v16, null, s72, v49, vcc_lo
	v_add_co_u32 v17, vcc_lo, s71, v46
	.loc	1 165 23                        ; attention_bwd.py:165:23
	v_or_b32_e32 v32, 34, v4
	v_or_b32_e32 v26, 28, v4
	.loc	1 171 20                        ; attention_bwd.py:171:20
	s_clause 0x1                            ; 12-byte Folded Spill
	scratch_store_b64 off, v[48:49], off offset:1812
	scratch_store_b32 off, v0, off offset:1732
	v_add_co_ci_u32_e64 v18, null, s72, v47, vcc_lo
	.loc	1 171 16 is_stmt 0              ; attention_bwd.py:171:16
	v_or3_b32 v0, v41, v7, v3
	.loc	1 171 20                        ; attention_bwd.py:171:20
	s_clause 0x1                            ; 16-byte Folded Spill
	scratch_store_b64 off, v[52:53], off offset:1828
	scratch_store_b64 off, v[46:47], off offset:1804
	v_lshlrev_b64 v[46:47], 1, v[19:20]
	v_ashrrev_i32_e32 v22, 31, v21
	.loc	1 165 23 is_stmt 1              ; attention_bwd.py:165:23
	v_or_b32_e32 v28, 30, v4
	.loc	1 171 38                        ; attention_bwd.py:171:38
	v_mul_lo_u32 v31, s54, v24
	.loc	1 171 20 is_stmt 0              ; attention_bwd.py:171:20
	v_ashrrev_i32_e32 v24, 31, v23
	.loc	1 171 38                        ; attention_bwd.py:171:38
	v_mul_lo_u32 v39, s54, v32
	.loc	1 171 20                        ; attention_bwd.py:171:20
	v_add_co_u32 v19, vcc_lo, s71, v44
	.loc	1 171 38                        ; attention_bwd.py:171:38
	v_mul_lo_u32 v33, s54, v26
	.loc	1 171 20                        ; attention_bwd.py:171:20
	v_ashrrev_i32_e32 v26, 31, v25
	s_clause 0x2                            ; 24-byte Folded Spill
	scratch_store_b64 off, v[50:51], off offset:1820
	scratch_store_b64 off, v[44:45], off offset:1796
	;; [unrolled: 1-line block ×3, first 2 shown]
	v_add_co_ci_u32_e64 v20, null, s72, v45, vcc_lo
	v_lshlrev_b64 v[44:45], 1, v[21:22]
	v_add_co_u32 v21, vcc_lo, s71, v46
	.loc	1 171 38                        ; attention_bwd.py:171:38
	v_mul_lo_u32 v35, s54, v28
	.loc	1 171 20                        ; attention_bwd.py:171:20
	v_ashrrev_i32_e32 v28, 31, v27
	v_add_co_ci_u32_e64 v22, null, s72, v47, vcc_lo
	v_lshlrev_b64 v[46:47], 1, v[23:24]
	v_lshlrev_b64 v[168:169], 1, v[25:26]
	v_ashrrev_i32_e32 v32, 31, v31
	.loc	1 165 23 is_stmt 1              ; attention_bwd.py:165:23
	v_or_b32_e32 v38, 40, v4
	.loc	1 171 20                        ; attention_bwd.py:171:20
	v_add_co_u32 v23, vcc_lo, s71, v44
	v_lshlrev_b64 v[170:171], 1, v[27:28]
	v_ashrrev_i32_e32 v40, 31, v39
	.loc	1 171 58 is_stmt 0              ; attention_bwd.py:171:58
	v_and_b32_e32 v107, 63, v29
	.loc	1 171 20                        ; attention_bwd.py:171:20
	v_ashrrev_i32_e32 v34, 31, v33
	v_add_co_ci_u32_e64 v24, null, s72, v45, vcc_lo
	v_add_co_u32 v25, vcc_lo, s71, v46
	v_ashrrev_i32_e32 v36, 31, v35
	v_add_co_ci_u32_e64 v26, null, s72, v47, vcc_lo
	v_add_co_u32 v27, vcc_lo, s71, v168
	v_lshlrev_b64 v[174:175], 1, v[31:32]
	.loc	1 171 38                        ; attention_bwd.py:171:38
	v_mul_lo_u32 v1, s54, v38
	.loc	1 171 20                        ; attention_bwd.py:171:20
	v_ashrrev_i32_e32 v38, 31, v37
	v_lshlrev_b64 v[182:183], 1, v[39:40]
	.loc	1 171 69                        ; attention_bwd.py:171:69
	v_mul_lo_u32 v39, s55, v107
	.loc	1 171 20                        ; attention_bwd.py:171:20
	scratch_store_b64 off, v[44:45], off offset:1844 ; 8-byte Folded Spill
	v_add_co_ci_u32_e64 v28, null, s72, v169, vcc_lo
	v_add_co_u32 v44, vcc_lo, s71, v170
	v_lshlrev_b64 v[176:177], 1, v[33:34]
	v_add_co_ci_u32_e64 v30, null, s72, v171, vcc_lo
	v_add_co_u32 v31, vcc_lo, s71, v172
	v_lshlrev_b64 v[178:179], 1, v[35:36]
	;; [unrolled: 3-line block ×3, first 2 shown]
	v_add_co_ci_u32_e64 v34, null, s72, v175, vcc_lo
	v_add_co_u32 v35, vcc_lo, s71, v176
	.loc	1 171 51                        ; attention_bwd.py:171:51
	v_ashrrev_i32_e32 v40, 31, v39
	.loc	1 171 20                        ; attention_bwd.py:171:20
	v_add_co_ci_u32_e64 v36, null, s72, v177, vcc_lo
	v_add_co_u32 v37, vcc_lo, s71, v178
	s_delay_alu instid0(VALU_DEP_1) | instskip(SKIP_1) | instid1(VALU_DEP_1)
	v_add_co_ci_u32_e64 v38, null, s72, v179, vcc_lo
	v_add_co_u32 v45, vcc_lo, s71, v180
	v_add_co_ci_u32_e64 v48, null, s72, v181, vcc_lo
	v_add_co_u32 v51, vcc_lo, s71, v182
	.loc	1 171 51                        ; attention_bwd.py:171:51
	v_lshlrev_b64 v[251:252], 1, v[39:40]
	.loc	1 171 20                        ; attention_bwd.py:171:20
	v_add_co_ci_u32_e64 v53, null, s72, v183, vcc_lo
	v_add_co_u32 v42, vcc_lo, s71, v184
	s_delay_alu instid0(VALU_DEP_1) | instskip(SKIP_1) | instid1(VALU_DEP_1)
	v_add_co_ci_u32_e64 v54, null, s72, v185, vcc_lo
	v_add_co_u32 v3, vcc_lo, s71, v186
	v_add_co_ci_u32_e64 v41, null, s72, v187, vcc_lo
	.loc	1 171 51                        ; attention_bwd.py:171:51
	v_add_co_u32 v162, vcc_lo, v6, v251
	s_delay_alu instid0(VALU_DEP_1) | instskip(SKIP_1) | instid1(VALU_DEP_1)
	v_add_co_ci_u32_e64 v163, null, v8, v252, vcc_lo
	v_add_co_u32 v160, vcc_lo, v9, v251
	v_add_co_ci_u32_e64 v161, null, v10, v252, vcc_lo
	v_add_co_u32 v158, vcc_lo, v11, v251
	s_delay_alu instid0(VALU_DEP_1) | instskip(SKIP_1) | instid1(VALU_DEP_1)
	v_add_co_ci_u32_e64 v159, null, v12, v252, vcc_lo
	v_add_co_u32 v156, vcc_lo, v13, v251
	v_add_co_ci_u32_e64 v157, null, v14, v252, vcc_lo
	;; [unrolled: 5-line block ×3, first 2 shown]
	v_add_co_u32 v150, vcc_lo, v19, v251
	.loc	1 171 20                        ; attention_bwd.py:171:20
	v_ashrrev_i32_e32 v2, 31, v1
	.loc	1 165 23 is_stmt 1              ; attention_bwd.py:165:23
	v_or_b32_e32 v6, 42, v4
	.loc	1 171 51                        ; attention_bwd.py:171:51
	v_add_co_ci_u32_e64 v151, null, v20, v252, vcc_lo
	v_add_co_u32 v148, vcc_lo, v21, v251
	.loc	1 171 20 is_stmt 0              ; attention_bwd.py:171:20
	scratch_store_b32 off, v0, off offset:32 ; 4-byte Folded Spill
	.loc	1 171 51                        ; attention_bwd.py:171:51
	v_add_co_ci_u32_e64 v149, null, v22, v252, vcc_lo
	v_add_co_u32 v0, vcc_lo, v23, v251
	.loc	1 171 20                        ; attention_bwd.py:171:20
	v_lshlrev_b64 v[188:189], 1, v[1:2]
	.loc	1 171 51                        ; attention_bwd.py:171:51
	v_add_co_ci_u32_e64 v1, null, v24, v252, vcc_lo
	v_add_co_u32 v39, vcc_lo, v25, v251
	.loc	1 171 38                        ; attention_bwd.py:171:38
	v_mul_lo_u32 v25, s54, v6
	.loc	1 171 51                        ; attention_bwd.py:171:51
	v_add_co_ci_u32_e64 v40, null, v26, v252, vcc_lo
	.loc	1 165 23 is_stmt 1              ; attention_bwd.py:165:23
	v_or_b32_e32 v14, 46, v4
	.loc	1 171 51                        ; attention_bwd.py:171:51
	v_add_co_u32 v27, vcc_lo, v27, v251
	s_delay_alu instid0(VALU_DEP_1) | instskip(SKIP_2) | instid1(VALU_DEP_1)
	v_add_co_ci_u32_e64 v28, null, v28, v252, vcc_lo
	.loc	1 171 20 is_stmt 0              ; attention_bwd.py:171:20
	v_ashrrev_i32_e32 v26, 31, v25
	.loc	1 171 51                        ; attention_bwd.py:171:51
	v_add_co_u32 v43, vcc_lo, v44, v251
	v_add_co_ci_u32_e64 v44, null, v30, v252, vcc_lo
	s_delay_alu instid0(VALU_DEP_3) | instskip(SKIP_2) | instid1(VALU_DEP_1)
	.loc	1 171 20                        ; attention_bwd.py:171:20
	v_lshlrev_b64 v[190:191], 1, v[25:26]
	.loc	1 171 38                        ; attention_bwd.py:171:38
	v_mul_lo_u32 v25, s54, v14
	.loc	1 171 51                        ; attention_bwd.py:171:51
	v_add_co_u32 v30, vcc_lo, v31, v251
	v_add_co_ci_u32_e64 v31, null, v32, v252, vcc_lo
	v_add_co_u32 v33, vcc_lo, v33, v251
	s_delay_alu instid0(VALU_DEP_1)
	v_add_co_ci_u32_e64 v34, null, v34, v252, vcc_lo
	.loc	1 171 20                        ; attention_bwd.py:171:20
	v_ashrrev_i32_e32 v26, 31, v25
	.loc	1 165 23 is_stmt 1              ; attention_bwd.py:165:23
	v_or_b32_e32 v6, 44, v4
	v_or_b32_e32 v14, 48, v4
	scratch_store_b64 off, v[172:173], off offset:1904 ; 8-byte Folded Spill
	.loc	1 171 20                        ; attention_bwd.py:171:20
	v_lshlrev_b64 v[194:195], 1, v[25:26]
	scratch_store_b64 off, v[46:47], off offset:1852 ; 8-byte Folded Spill
	.loc	1 171 51 is_stmt 0              ; attention_bwd.py:171:51
	v_add_co_u32 v46, vcc_lo, v35, v251
	s_delay_alu instid0(VALU_DEP_1) | instskip(SKIP_1) | instid1(VALU_DEP_1)
	v_add_co_ci_u32_e64 v47, null, v36, v252, vcc_lo
	v_add_co_u32 v36, vcc_lo, v37, v251
	v_add_co_ci_u32_e64 v37, null, v38, v252, vcc_lo
	v_add_co_u32 v49, vcc_lo, v45, v251
	s_delay_alu instid0(VALU_DEP_1) | instskip(SKIP_1) | instid1(VALU_DEP_1)
	v_add_co_ci_u32_e64 v50, null, v48, v252, vcc_lo
	v_add_co_u32 v52, vcc_lo, v51, v251
	v_add_co_ci_u32_e64 v53, null, v53, v252, vcc_lo
	;; [unrolled: 5-line block ×3, first 2 shown]
	.loc	1 171 38                        ; attention_bwd.py:171:38
	v_mul_lo_u32 v41, s54, v6
	.loc	1 171 20                        ; attention_bwd.py:171:20
	v_add_co_u32 v3, vcc_lo, s71, v188
	s_delay_alu instid0(VALU_DEP_1)
	v_add_co_ci_u32_e64 v6, null, s72, v189, vcc_lo
	.loc	1 171 16                        ; attention_bwd.py:171:16
	s_clause 0x2
	global_load_u16 v48, v[0:1], off
	global_load_u16 v32, v[39:40], off
	;; [unrolled: 1-line block ×3, first 2 shown]
	.loc	1 171 51                        ; attention_bwd.py:171:51
	v_add_co_u32 v59, vcc_lo, v3, v251
	.loc	1 171 20                        ; attention_bwd.py:171:20
	v_ashrrev_i32_e32 v42, 31, v41
	.loc	1 171 51                        ; attention_bwd.py:171:51
	v_add_co_ci_u32_e64 v60, null, v6, v252, vcc_lo
	.loc	1 171 20                        ; attention_bwd.py:171:20
	v_add_co_u32 v3, vcc_lo, s71, v190
	s_delay_alu instid0(VALU_DEP_3) | instskip(SKIP_4) | instid1(VALU_DEP_1)
	v_lshlrev_b64 v[192:193], 1, v[41:42]
	v_add_co_ci_u32_e64 v6, null, s72, v191, vcc_lo
	.loc	1 171 38                        ; attention_bwd.py:171:38
	v_mul_lo_u32 v41, s54, v14
	.loc	1 165 23 is_stmt 1              ; attention_bwd.py:165:23
	v_or_b32_e32 v14, 50, v4
	.loc	1 171 51                        ; attention_bwd.py:171:51
	v_add_co_u32 v61, vcc_lo, v3, v251
	v_add_co_ci_u32_e64 v62, null, v6, v252, vcc_lo
	.loc	1 171 20 is_stmt 0              ; attention_bwd.py:171:20
	v_add_co_u32 v3, vcc_lo, s71, v192
	s_delay_alu instid0(VALU_DEP_1) | instskip(SKIP_4) | instid1(VALU_DEP_1)
	v_add_co_ci_u32_e64 v6, null, s72, v193, vcc_lo
	.loc	1 171 38                        ; attention_bwd.py:171:38
	v_mul_lo_u32 v25, s54, v14
	.loc	1 171 20                        ; attention_bwd.py:171:20
	v_ashrrev_i32_e32 v42, 31, v41
	.loc	1 165 23 is_stmt 1              ; attention_bwd.py:165:23
	v_or_b32_e32 v14, 52, v4
	.loc	1 171 51                        ; attention_bwd.py:171:51
	v_add_co_u32 v63, vcc_lo, v3, v251
	v_add_co_ci_u32_e64 v64, null, v6, v252, vcc_lo
	.loc	1 171 20 is_stmt 0              ; attention_bwd.py:171:20
	v_add_co_u32 v3, vcc_lo, s71, v194
	v_lshlrev_b64 v[196:197], 1, v[41:42]
	v_add_co_ci_u32_e64 v6, null, s72, v195, vcc_lo
	.loc	1 171 38                        ; attention_bwd.py:171:38
	v_mul_lo_u32 v41, s54, v14
	.loc	1 171 20                        ; attention_bwd.py:171:20
	v_ashrrev_i32_e32 v26, 31, v25
	.loc	1 171 51                        ; attention_bwd.py:171:51
	v_add_co_u32 v65, vcc_lo, v3, v251
	s_delay_alu instid0(VALU_DEP_1) | instskip(SKIP_1) | instid1(VALU_DEP_4)
	v_add_co_ci_u32_e64 v66, null, v6, v252, vcc_lo
	.loc	1 171 20                        ; attention_bwd.py:171:20
	v_add_co_u32 v3, vcc_lo, s71, v196
	v_lshlrev_b64 v[200:201], 1, v[25:26]
	v_add_co_ci_u32_e64 v6, null, s72, v197, vcc_lo
	v_ashrrev_i32_e32 v42, 31, v41
	s_delay_alu instid0(VALU_DEP_4) | instskip(NEXT) | instid1(VALU_DEP_1)
	.loc	1 171 51                        ; attention_bwd.py:171:51
	v_add_co_u32 v67, vcc_lo, v3, v251
	v_add_co_ci_u32_e64 v68, null, v6, v252, vcc_lo
	.loc	1 171 20                        ; attention_bwd.py:171:20
	v_add_co_u32 v3, vcc_lo, s71, v200
	s_delay_alu instid0(VALU_DEP_4) | instskip(SKIP_1) | instid1(VALU_DEP_3)
	v_lshlrev_b64 v[202:203], 1, v[41:42]
	v_add_co_ci_u32_e64 v6, null, s72, v201, vcc_lo
	.loc	1 171 51                        ; attention_bwd.py:171:51
	v_add_co_u32 v69, vcc_lo, v3, v251
	.loc	1 171 16                        ; attention_bwd.py:171:16
	v_lshlrev_b32_e32 v1, 1, v107
	s_delay_alu instid0(VALU_DEP_3) | instskip(SKIP_1) | instid1(VALU_DEP_1)
	.loc	1 171 51                        ; attention_bwd.py:171:51
	v_add_co_ci_u32_e64 v70, null, v6, v252, vcc_lo
	.loc	1 171 20                        ; attention_bwd.py:171:20
	v_add_co_u32 v3, vcc_lo, s71, v202
	v_add_co_ci_u32_e64 v6, null, s72, v203, vcc_lo
	s_clause 0x1                            ; 16-byte Folded Spill
	scratch_store_b64 off, v[164:165], off offset:1872
	scratch_store_b64 off, v[196:197], off offset:2136
	.loc	1 171 51                        ; attention_bwd.py:171:51
	v_add_co_u32 v71, vcc_lo, v3, v251
	.loc	1 165 23 is_stmt 1              ; attention_bwd.py:165:23
	v_or_b32_e32 v3, 54, v4
	.loc	1 171 51                        ; attention_bwd.py:171:51
	v_add_co_ci_u32_e64 v72, null, v6, v252, vcc_lo
	s_clause 0x1                            ; 16-byte Folded Spill
	scratch_store_b64 off, v[166:167], off offset:1880
	scratch_store_b64 off, v[168:169], off offset:1888
	.loc	1 171 38 is_stmt 0              ; attention_bwd.py:171:38
	v_mul_lo_u32 v25, s54, v3
	s_delay_alu instid0(VALU_DEP_1) | instskip(NEXT) | instid1(VALU_DEP_1)
	.loc	1 171 20                        ; attention_bwd.py:171:20
	v_ashrrev_i32_e32 v26, 31, v25
	v_lshlrev_b64 v[204:205], 1, v[25:26]
	scratch_store_b64 off, v[170:171], off offset:1896 ; 8-byte Folded Spill
	v_add_co_u32 v3, vcc_lo, s71, v204
	s_delay_alu instid0(VALU_DEP_1) | instskip(NEXT) | instid1(VALU_DEP_2)
	v_add_co_ci_u32_e64 v6, null, s72, v205, vcc_lo
	.loc	1 171 51                        ; attention_bwd.py:171:51
	v_add_co_u32 v73, vcc_lo, v3, v251
	.loc	1 165 23 is_stmt 1              ; attention_bwd.py:165:23
	v_or_b32_e32 v3, 56, v4
	s_delay_alu instid0(VALU_DEP_3) | instskip(NEXT) | instid1(VALU_DEP_2)
	.loc	1 171 51                        ; attention_bwd.py:171:51
	v_add_co_ci_u32_e64 v74, null, v6, v252, vcc_lo
	.loc	1 171 38 is_stmt 0              ; attention_bwd.py:171:38
	v_mul_lo_u32 v25, s54, v3
	s_delay_alu instid0(VALU_DEP_1) | instskip(NEXT) | instid1(VALU_DEP_1)
	.loc	1 171 20                        ; attention_bwd.py:171:20
	v_ashrrev_i32_e32 v26, 31, v25
	v_lshlrev_b64 v[206:207], 1, v[25:26]
	scratch_store_b64 off, v[174:175], off offset:1912 ; 8-byte Folded Spill
	v_add_co_u32 v3, vcc_lo, s71, v206
	s_delay_alu instid0(VALU_DEP_1) | instskip(NEXT) | instid1(VALU_DEP_2)
	v_add_co_ci_u32_e64 v6, null, s72, v207, vcc_lo
	.loc	1 171 51                        ; attention_bwd.py:171:51
	v_add_co_u32 v75, vcc_lo, v3, v251
	.loc	1 165 23 is_stmt 1              ; attention_bwd.py:165:23
	v_or_b32_e32 v3, 58, v4
	s_delay_alu instid0(VALU_DEP_3) | instskip(NEXT) | instid1(VALU_DEP_2)
	.loc	1 171 51                        ; attention_bwd.py:171:51
	v_add_co_ci_u32_e64 v76, null, v6, v252, vcc_lo
	.loc	1 171 38 is_stmt 0              ; attention_bwd.py:171:38
	v_mul_lo_u32 v25, s54, v3
	s_delay_alu instid0(VALU_DEP_1) | instskip(NEXT) | instid1(VALU_DEP_1)
	.loc	1 171 20                        ; attention_bwd.py:171:20
	v_ashrrev_i32_e32 v26, 31, v25
	v_lshlrev_b64 v[208:209], 1, v[25:26]
	s_clause 0x1                            ; 16-byte Folded Spill
	scratch_store_b64 off, v[176:177], off offset:1920
	scratch_store_b64 off, v[208:209], off offset:2180
	v_add_co_u32 v3, vcc_lo, s71, v208
	s_delay_alu instid0(VALU_DEP_1) | instskip(NEXT) | instid1(VALU_DEP_2)
	v_add_co_ci_u32_e64 v6, null, s72, v209, vcc_lo
	.loc	1 171 51                        ; attention_bwd.py:171:51
	v_add_co_u32 v77, vcc_lo, v3, v251
	.loc	1 165 23 is_stmt 1              ; attention_bwd.py:165:23
	v_or_b32_e32 v3, 60, v4
	s_delay_alu instid0(VALU_DEP_3) | instskip(NEXT) | instid1(VALU_DEP_2)
	.loc	1 171 51                        ; attention_bwd.py:171:51
	v_add_co_ci_u32_e64 v78, null, v6, v252, vcc_lo
	.loc	1 171 38 is_stmt 0              ; attention_bwd.py:171:38
	v_mul_lo_u32 v25, s54, v3
	s_delay_alu instid0(VALU_DEP_1) | instskip(NEXT) | instid1(VALU_DEP_1)
	.loc	1 171 20                        ; attention_bwd.py:171:20
	v_ashrrev_i32_e32 v26, 31, v25
	v_lshlrev_b64 v[210:211], 1, v[25:26]
	scratch_store_b64 off, v[178:179], off offset:1928 ; 8-byte Folded Spill
	v_add_co_u32 v3, vcc_lo, s71, v210
	s_delay_alu instid0(VALU_DEP_1) | instskip(NEXT) | instid1(VALU_DEP_2)
	v_add_co_ci_u32_e64 v6, null, s72, v211, vcc_lo
	.loc	1 171 51                        ; attention_bwd.py:171:51
	v_add_co_u32 v79, vcc_lo, v3, v251
	.loc	1 165 23 is_stmt 1              ; attention_bwd.py:165:23
	v_or_b32_e32 v3, 62, v4
	s_delay_alu instid0(VALU_DEP_3) | instskip(NEXT) | instid1(VALU_DEP_2)
	.loc	1 171 51                        ; attention_bwd.py:171:51
	v_add_co_ci_u32_e64 v80, null, v6, v252, vcc_lo
	.loc	1 171 38 is_stmt 0              ; attention_bwd.py:171:38
	v_mul_lo_u32 v25, s54, v3
	s_delay_alu instid0(VALU_DEP_1) | instskip(NEXT) | instid1(VALU_DEP_1)
	.loc	1 171 20                        ; attention_bwd.py:171:20
	v_ashrrev_i32_e32 v26, 31, v25
	v_lshlrev_b64 v[212:213], 1, v[25:26]
	scratch_store_b64 off, v[180:181], off offset:1936 ; 8-byte Folded Spill
	;; [unrolled: 17-line block ×5, first 2 shown]
	v_add_co_u32 v3, vcc_lo, s71, v218
	s_delay_alu instid0(VALU_DEP_1) | instskip(NEXT) | instid1(VALU_DEP_2)
	v_add_co_ci_u32_e64 v6, null, s72, v219, vcc_lo
	.loc	1 171 51                        ; attention_bwd.py:171:51
	v_add_co_u32 v87, vcc_lo, v3, v251
	.loc	1 165 23 is_stmt 1              ; attention_bwd.py:165:23
	v_or_b32_e32 v3, 0x46, v4
	s_delay_alu instid0(VALU_DEP_3)
	.loc	1 171 51                        ; attention_bwd.py:171:51
	v_add_co_ci_u32_e64 v88, null, v6, v252, vcc_lo
	.loc	1 171 16 is_stmt 0              ; attention_bwd.py:171:16
	s_waitcnt vmcnt(0)
	scratch_store_b32 off, v0, off offset:312 ; 4-byte Folded Spill
	.loc	1 171 38                        ; attention_bwd.py:171:38
	v_mul_lo_u32 v25, s54, v3
	.loc	1 171 16                        ; attention_bwd.py:171:16
	global_load_u16 v0, v[43:44], off
	.loc	1 171 20                        ; attention_bwd.py:171:20
	v_ashrrev_i32_e32 v26, 31, v25
	s_delay_alu instid0(VALU_DEP_1) | instskip(SKIP_2) | instid1(VALU_DEP_1)
	v_lshlrev_b64 v[220:221], 1, v[25:26]
	scratch_store_b64 off, v[188:189], off offset:2104 ; 8-byte Folded Spill
	v_add_co_u32 v3, vcc_lo, s71, v220
	v_add_co_ci_u32_e64 v6, null, s72, v221, vcc_lo
	s_delay_alu instid0(VALU_DEP_2) | instskip(SKIP_1) | instid1(VALU_DEP_3)
	.loc	1 171 51                        ; attention_bwd.py:171:51
	v_add_co_u32 v89, vcc_lo, v3, v251
	.loc	1 165 23 is_stmt 1              ; attention_bwd.py:165:23
	v_or_b32_e32 v3, 0x48, v4
	.loc	1 171 51                        ; attention_bwd.py:171:51
	v_add_co_ci_u32_e64 v90, null, v6, v252, vcc_lo
	s_delay_alu instid0(VALU_DEP_2) | instskip(NEXT) | instid1(VALU_DEP_1)
	.loc	1 171 38 is_stmt 0              ; attention_bwd.py:171:38
	v_mul_lo_u32 v25, s54, v3
	.loc	1 171 20                        ; attention_bwd.py:171:20
	v_ashrrev_i32_e32 v26, 31, v25
	s_delay_alu instid0(VALU_DEP_1) | instskip(SKIP_2) | instid1(VALU_DEP_1)
	v_lshlrev_b64 v[222:223], 1, v[25:26]
	scratch_store_b64 off, v[190:191], off offset:2112 ; 8-byte Folded Spill
	v_add_co_u32 v3, vcc_lo, s71, v222
	v_add_co_ci_u32_e64 v6, null, s72, v223, vcc_lo
	s_delay_alu instid0(VALU_DEP_2) | instskip(SKIP_1) | instid1(VALU_DEP_3)
	.loc	1 171 51                        ; attention_bwd.py:171:51
	v_add_co_u32 v91, vcc_lo, v3, v251
	.loc	1 165 23 is_stmt 1              ; attention_bwd.py:165:23
	v_or_b32_e32 v3, 0x4a, v4
	.loc	1 171 51                        ; attention_bwd.py:171:51
	v_add_co_ci_u32_e64 v92, null, v6, v252, vcc_lo
	s_delay_alu instid0(VALU_DEP_2) | instskip(NEXT) | instid1(VALU_DEP_1)
	.loc	1 171 38 is_stmt 0              ; attention_bwd.py:171:38
	v_mul_lo_u32 v25, s54, v3
	;; [unrolled: 17-line block ×3, first 2 shown]
	.loc	1 171 20                        ; attention_bwd.py:171:20
	v_ashrrev_i32_e32 v26, 31, v25
	s_delay_alu instid0(VALU_DEP_1) | instskip(SKIP_4) | instid1(VALU_DEP_1)
	v_lshlrev_b64 v[226:227], 1, v[25:26]
	s_clause 0x1                            ; 16-byte Folded Spill
	scratch_store_b64 off, v[194:195], off offset:2128
	scratch_store_b64 off, v[226:227], off offset:2264
	v_add_co_u32 v3, vcc_lo, s71, v226
	v_add_co_ci_u32_e64 v6, null, s72, v227, vcc_lo
	s_delay_alu instid0(VALU_DEP_2) | instskip(SKIP_1) | instid1(VALU_DEP_3)
	.loc	1 171 51                        ; attention_bwd.py:171:51
	v_add_co_u32 v95, vcc_lo, v3, v251
	.loc	1 165 23 is_stmt 1              ; attention_bwd.py:165:23
	v_or_b32_e32 v3, 0x4e, v4
	.loc	1 171 51                        ; attention_bwd.py:171:51
	v_add_co_ci_u32_e64 v96, null, v6, v252, vcc_lo
	s_delay_alu instid0(VALU_DEP_2) | instskip(NEXT) | instid1(VALU_DEP_1)
	.loc	1 171 38 is_stmt 0              ; attention_bwd.py:171:38
	v_mul_lo_u32 v25, s54, v3
	.loc	1 171 20                        ; attention_bwd.py:171:20
	v_ashrrev_i32_e32 v26, 31, v25
	s_delay_alu instid0(VALU_DEP_1) | instskip(SKIP_4) | instid1(VALU_DEP_1)
	v_lshlrev_b64 v[228:229], 1, v[25:26]
	s_clause 0x1                            ; 16-byte Folded Spill
	scratch_store_b64 off, v[200:201], off offset:2144
	scratch_store_b64 off, v[228:229], off offset:2272
	v_add_co_u32 v3, vcc_lo, s71, v228
	v_add_co_ci_u32_e64 v6, null, s72, v229, vcc_lo
	s_delay_alu instid0(VALU_DEP_2) | instskip(SKIP_1) | instid1(VALU_DEP_3)
	.loc	1 171 51                        ; attention_bwd.py:171:51
	v_add_co_u32 v97, vcc_lo, v3, v251
	.loc	1 165 23 is_stmt 1              ; attention_bwd.py:165:23
	v_or_b32_e32 v3, 0x50, v4
	.loc	1 171 51                        ; attention_bwd.py:171:51
	v_add_co_ci_u32_e64 v98, null, v6, v252, vcc_lo
	s_delay_alu instid0(VALU_DEP_2) | instskip(NEXT) | instid1(VALU_DEP_1)
	.loc	1 171 38 is_stmt 0              ; attention_bwd.py:171:38
	v_mul_lo_u32 v25, s54, v3
	;; [unrolled: 19-line block ×6, first 2 shown]
	.loc	1 171 20                        ; attention_bwd.py:171:20
	v_ashrrev_i32_e32 v26, 31, v25
	s_delay_alu instid0(VALU_DEP_1) | instskip(SKIP_4) | instid1(VALU_DEP_1)
	v_lshlrev_b64 v[238:239], 1, v[25:26]
	s_clause 0x1                            ; 16-byte Folded Spill
	scratch_store_b64 off, v[212:213], off offset:2208
	scratch_store_b64 off, v[238:239], off offset:2312
	v_add_co_u32 v3, vcc_lo, s71, v238
	v_add_co_ci_u32_e64 v6, null, s72, v239, vcc_lo
	s_delay_alu instid0(VALU_DEP_2) | instskip(SKIP_1) | instid1(VALU_DEP_3)
	.loc	1 171 51                        ; attention_bwd.py:171:51
	v_add_co_u32 v110, vcc_lo, v3, v251
	.loc	1 165 23 is_stmt 1              ; attention_bwd.py:165:23
	v_or_b32_e32 v3, 0x5a, v4
	.loc	1 171 51                        ; attention_bwd.py:171:51
	v_add_co_ci_u32_e64 v111, null, v6, v252, vcc_lo
	s_delay_alu instid0(VALU_DEP_2)
	.loc	1 171 38 is_stmt 0              ; attention_bwd.py:171:38
	v_mul_lo_u32 v25, s54, v3
	.loc	1 171 16                        ; attention_bwd.py:171:16
	s_waitcnt vmcnt(0)
	scratch_store_b32 off, v0, off offset:128 ; 4-byte Folded Spill
	s_clause 0x2
	global_load_u16 v51, v[30:31], off
	global_load_u16 v35, v[33:34], off
	;; [unrolled: 1-line block ×3, first 2 shown]
	.loc	1 171 20                        ; attention_bwd.py:171:20
	v_ashrrev_i32_e32 v26, 31, v25
	s_delay_alu instid0(VALU_DEP_1) | instskip(SKIP_4) | instid1(VALU_DEP_1)
	v_lshlrev_b64 v[240:241], 1, v[25:26]
	s_clause 0x1                            ; 16-byte Folded Spill
	scratch_store_b64 off, v[214:215], off offset:2216
	scratch_store_b64 off, v[240:241], off offset:2320
	v_add_co_u32 v3, vcc_lo, s71, v240
	v_add_co_ci_u32_e64 v6, null, s72, v241, vcc_lo
	s_delay_alu instid0(VALU_DEP_2) | instskip(SKIP_1) | instid1(VALU_DEP_3)
	.loc	1 171 51                        ; attention_bwd.py:171:51
	v_add_co_u32 v112, vcc_lo, v3, v251
	.loc	1 165 23 is_stmt 1              ; attention_bwd.py:165:23
	v_or_b32_e32 v3, 0x5c, v4
	.loc	1 171 51                        ; attention_bwd.py:171:51
	v_add_co_ci_u32_e64 v113, null, v6, v252, vcc_lo
	s_delay_alu instid0(VALU_DEP_2) | instskip(NEXT) | instid1(VALU_DEP_1)
	.loc	1 171 38 is_stmt 0              ; attention_bwd.py:171:38
	v_mul_lo_u32 v25, s54, v3
	.loc	1 171 20                        ; attention_bwd.py:171:20
	v_ashrrev_i32_e32 v26, 31, v25
	s_delay_alu instid0(VALU_DEP_1) | instskip(SKIP_4) | instid1(VALU_DEP_1)
	v_lshlrev_b64 v[242:243], 1, v[25:26]
	s_clause 0x1                            ; 16-byte Folded Spill
	scratch_store_b64 off, v[216:217], off offset:2224
	scratch_store_b64 off, v[242:243], off offset:2328
	v_add_co_u32 v3, vcc_lo, s71, v242
	v_add_co_ci_u32_e64 v6, null, s72, v243, vcc_lo
	s_delay_alu instid0(VALU_DEP_2) | instskip(SKIP_1) | instid1(VALU_DEP_3)
	.loc	1 171 51                        ; attention_bwd.py:171:51
	v_add_co_u32 v114, vcc_lo, v3, v251
	.loc	1 165 23 is_stmt 1              ; attention_bwd.py:165:23
	v_or_b32_e32 v3, 0x5e, v4
	.loc	1 171 51                        ; attention_bwd.py:171:51
	v_add_co_ci_u32_e64 v115, null, v6, v252, vcc_lo
	s_delay_alu instid0(VALU_DEP_2) | instskip(NEXT) | instid1(VALU_DEP_1)
	.loc	1 171 38 is_stmt 0              ; attention_bwd.py:171:38
	v_mul_lo_u32 v25, s54, v3
	;; [unrolled: 19-line block ×6, first 2 shown]
	.loc	1 171 20                        ; attention_bwd.py:171:20
	v_ashrrev_i32_e32 v26, 31, v25
	s_delay_alu instid0(VALU_DEP_1) | instskip(NEXT) | instid1(VALU_DEP_1)
	v_lshlrev_b64 v[41:42], 1, v[25:26]
	v_add_co_u32 v3, vcc_lo, s71, v41
	s_delay_alu instid0(VALU_DEP_1) | instskip(NEXT) | instid1(VALU_DEP_2)
	v_add_co_ci_u32_e64 v6, null, s72, v42, vcc_lo
	.loc	1 171 51                        ; attention_bwd.py:171:51
	v_add_co_u32 v124, vcc_lo, v3, v251
	.loc	1 165 23 is_stmt 1              ; attention_bwd.py:165:23
	v_or_b32_e32 v3, 0x68, v4
	s_delay_alu instid0(VALU_DEP_3) | instskip(NEXT) | instid1(VALU_DEP_2)
	.loc	1 171 51                        ; attention_bwd.py:171:51
	v_add_co_ci_u32_e64 v125, null, v6, v252, vcc_lo
	.loc	1 171 38 is_stmt 0              ; attention_bwd.py:171:38
	v_mul_lo_u32 v25, s54, v3
	s_delay_alu instid0(VALU_DEP_1) | instskip(NEXT) | instid1(VALU_DEP_1)
	.loc	1 171 20                        ; attention_bwd.py:171:20
	v_ashrrev_i32_e32 v26, 31, v25
	v_lshlrev_b64 v[254:255], 1, v[25:26]
	scratch_store_b64 off, v[41:42], off offset:2368 ; 8-byte Folded Spill
	v_add_co_u32 v3, vcc_lo, s71, v254
	s_delay_alu instid0(VALU_DEP_1) | instskip(NEXT) | instid1(VALU_DEP_2)
	v_add_co_ci_u32_e64 v6, null, s72, v255, vcc_lo
	.loc	1 171 51                        ; attention_bwd.py:171:51
	v_add_co_u32 v126, vcc_lo, v3, v251
	.loc	1 165 23 is_stmt 1              ; attention_bwd.py:165:23
	v_or_b32_e32 v3, 0x6a, v4
	s_delay_alu instid0(VALU_DEP_3) | instskip(NEXT) | instid1(VALU_DEP_2)
	.loc	1 171 51                        ; attention_bwd.py:171:51
	v_add_co_ci_u32_e64 v127, null, v6, v252, vcc_lo
	.loc	1 171 38 is_stmt 0              ; attention_bwd.py:171:38
	v_mul_lo_u32 v25, s54, v3
	s_delay_alu instid0(VALU_DEP_1) | instskip(NEXT) | instid1(VALU_DEP_1)
	.loc	1 171 20                        ; attention_bwd.py:171:20
	v_ashrrev_i32_e32 v26, 31, v25
	v_lshlrev_b64 v[198:199], 1, v[25:26]
	scratch_store_b64 off, v[254:255], off offset:2376 ; 8-byte Folded Spill
	v_add_co_u32 v3, vcc_lo, s71, v198
	s_delay_alu instid0(VALU_DEP_1) | instskip(NEXT) | instid1(VALU_DEP_2)
	v_add_co_ci_u32_e64 v6, null, s72, v199, vcc_lo
	.loc	1 171 51                        ; attention_bwd.py:171:51
	v_add_co_u32 v128, vcc_lo, v3, v251
	.loc	1 165 23 is_stmt 1              ; attention_bwd.py:165:23
	v_or_b32_e32 v3, 0x6c, v4
	s_delay_alu instid0(VALU_DEP_3) | instskip(NEXT) | instid1(VALU_DEP_2)
	.loc	1 171 51                        ; attention_bwd.py:171:51
	v_add_co_ci_u32_e64 v129, null, v6, v252, vcc_lo
	.loc	1 171 38 is_stmt 0              ; attention_bwd.py:171:38
	v_mul_lo_u32 v25, s54, v3
	s_delay_alu instid0(VALU_DEP_1) | instskip(NEXT) | instid1(VALU_DEP_1)
	.loc	1 171 20                        ; attention_bwd.py:171:20
	v_ashrrev_i32_e32 v26, 31, v25
	v_lshlrev_b64 v[23:24], 1, v[25:26]
	s_clause 0x1                            ; 16-byte Folded Spill
	scratch_store_b64 off, v[198:199], off offset:2384
	scratch_store_b64 off, v[23:24], off offset:2392
	v_add_co_u32 v3, vcc_lo, s71, v23
	s_delay_alu instid0(VALU_DEP_1) | instskip(NEXT) | instid1(VALU_DEP_2)
	v_add_co_ci_u32_e64 v6, null, s72, v24, vcc_lo
	.loc	1 171 51                        ; attention_bwd.py:171:51
	v_add_co_u32 v130, vcc_lo, v3, v251
	.loc	1 165 23 is_stmt 1              ; attention_bwd.py:165:23
	v_or_b32_e32 v3, 0x6e, v4
	s_delay_alu instid0(VALU_DEP_3) | instskip(NEXT) | instid1(VALU_DEP_2)
	.loc	1 171 51                        ; attention_bwd.py:171:51
	v_add_co_ci_u32_e64 v131, null, v6, v252, vcc_lo
	.loc	1 171 38 is_stmt 0              ; attention_bwd.py:171:38
	v_mul_lo_u32 v25, s54, v3
	s_delay_alu instid0(VALU_DEP_1) | instskip(SKIP_4) | instid1(VALU_DEP_1)
	.loc	1 171 20                        ; attention_bwd.py:171:20
	v_ashrrev_i32_e32 v26, 31, v25
	.loc	1 171 16                        ; attention_bwd.py:171:16
	s_waitcnt vmcnt(0)
	scratch_store_b32 off, v0, off offset:376 ; 4-byte Folded Spill
	global_load_u16 v0, v[36:37], off
	.loc	1 171 20                        ; attention_bwd.py:171:20
	v_lshlrev_b64 v[21:22], 1, v[25:26]
	v_add_co_u32 v3, vcc_lo, s71, v21
	s_delay_alu instid0(VALU_DEP_1) | instskip(NEXT) | instid1(VALU_DEP_2)
	v_add_co_ci_u32_e64 v6, null, s72, v22, vcc_lo
	.loc	1 171 51                        ; attention_bwd.py:171:51
	v_add_co_u32 v132, vcc_lo, v3, v251
	.loc	1 165 23 is_stmt 1              ; attention_bwd.py:165:23
	v_or_b32_e32 v3, 0x70, v4
	s_delay_alu instid0(VALU_DEP_3) | instskip(NEXT) | instid1(VALU_DEP_2)
	.loc	1 171 51                        ; attention_bwd.py:171:51
	v_add_co_ci_u32_e64 v133, null, v6, v252, vcc_lo
	.loc	1 171 38 is_stmt 0              ; attention_bwd.py:171:38
	v_mul_lo_u32 v25, s54, v3
	s_delay_alu instid0(VALU_DEP_1) | instskip(NEXT) | instid1(VALU_DEP_1)
	.loc	1 171 20                        ; attention_bwd.py:171:20
	v_ashrrev_i32_e32 v26, 31, v25
	v_lshlrev_b64 v[19:20], 1, v[25:26]
	scratch_store_b64 off, v[21:22], off offset:2412 ; 8-byte Folded Spill
	v_add_co_u32 v3, vcc_lo, s71, v19
	s_delay_alu instid0(VALU_DEP_1) | instskip(NEXT) | instid1(VALU_DEP_2)
	v_add_co_ci_u32_e64 v6, null, s72, v20, vcc_lo
	.loc	1 171 51                        ; attention_bwd.py:171:51
	v_add_co_u32 v134, vcc_lo, v3, v251
	.loc	1 165 23 is_stmt 1              ; attention_bwd.py:165:23
	v_or_b32_e32 v3, 0x72, v4
	s_delay_alu instid0(VALU_DEP_3) | instskip(NEXT) | instid1(VALU_DEP_2)
	.loc	1 171 51                        ; attention_bwd.py:171:51
	v_add_co_ci_u32_e64 v135, null, v6, v252, vcc_lo
	.loc	1 171 38 is_stmt 0              ; attention_bwd.py:171:38
	v_mul_lo_u32 v25, s54, v3
	s_delay_alu instid0(VALU_DEP_1) | instskip(NEXT) | instid1(VALU_DEP_1)
	.loc	1 171 20                        ; attention_bwd.py:171:20
	v_ashrrev_i32_e32 v26, 31, v25
	v_lshlrev_b64 v[17:18], 1, v[25:26]
	scratch_store_b64 off, v[19:20], off offset:2436 ; 8-byte Folded Spill
	v_add_co_u32 v3, vcc_lo, s71, v17
	s_delay_alu instid0(VALU_DEP_1) | instskip(NEXT) | instid1(VALU_DEP_2)
	v_add_co_ci_u32_e64 v6, null, s72, v18, vcc_lo
	.loc	1 171 51                        ; attention_bwd.py:171:51
	v_add_co_u32 v136, vcc_lo, v3, v251
	.loc	1 165 23 is_stmt 1              ; attention_bwd.py:165:23
	v_or_b32_e32 v3, 0x74, v4
	s_delay_alu instid0(VALU_DEP_3) | instskip(NEXT) | instid1(VALU_DEP_2)
	.loc	1 171 51                        ; attention_bwd.py:171:51
	v_add_co_ci_u32_e64 v137, null, v6, v252, vcc_lo
	.loc	1 171 38 is_stmt 0              ; attention_bwd.py:171:38
	v_mul_lo_u32 v25, s54, v3
	s_delay_alu instid0(VALU_DEP_1) | instskip(NEXT) | instid1(VALU_DEP_1)
	.loc	1 171 20                        ; attention_bwd.py:171:20
	v_ashrrev_i32_e32 v26, 31, v25
	v_lshlrev_b64 v[15:16], 1, v[25:26]
	s_clause 0x1                            ; 16-byte Folded Spill
	scratch_store_b64 off, v[17:18], off offset:2448
	scratch_store_b64 off, v[15:16], off offset:2456
	v_add_co_u32 v3, vcc_lo, s71, v15
	s_delay_alu instid0(VALU_DEP_1) | instskip(NEXT) | instid1(VALU_DEP_2)
	v_add_co_ci_u32_e64 v6, null, s72, v16, vcc_lo
	.loc	1 171 51                        ; attention_bwd.py:171:51
	v_add_co_u32 v138, vcc_lo, v3, v251
	.loc	1 165 23 is_stmt 1              ; attention_bwd.py:165:23
	v_or_b32_e32 v3, 0x76, v4
	s_delay_alu instid0(VALU_DEP_3) | instskip(NEXT) | instid1(VALU_DEP_2)
	.loc	1 171 51                        ; attention_bwd.py:171:51
	v_add_co_ci_u32_e64 v139, null, v6, v252, vcc_lo
	.loc	1 171 38 is_stmt 0              ; attention_bwd.py:171:38
	v_mul_lo_u32 v25, s54, v3
	s_delay_alu instid0(VALU_DEP_1) | instskip(NEXT) | instid1(VALU_DEP_1)
	.loc	1 171 20                        ; attention_bwd.py:171:20
	v_ashrrev_i32_e32 v26, 31, v25
	v_lshlrev_b64 v[13:14], 1, v[25:26]
	s_delay_alu instid0(VALU_DEP_1) | instskip(NEXT) | instid1(VALU_DEP_1)
	v_add_co_u32 v3, vcc_lo, s71, v13
	v_add_co_ci_u32_e64 v6, null, s72, v14, vcc_lo
	s_delay_alu instid0(VALU_DEP_2) | instskip(SKIP_1) | instid1(VALU_DEP_3)
	.loc	1 171 51                        ; attention_bwd.py:171:51
	v_add_co_u32 v140, vcc_lo, v3, v251
	.loc	1 165 23 is_stmt 1              ; attention_bwd.py:165:23
	v_or_b32_e32 v3, 0x78, v4
	.loc	1 171 51                        ; attention_bwd.py:171:51
	v_add_co_ci_u32_e64 v141, null, v6, v252, vcc_lo
	s_delay_alu instid0(VALU_DEP_2) | instskip(NEXT) | instid1(VALU_DEP_1)
	.loc	1 171 38 is_stmt 0              ; attention_bwd.py:171:38
	v_mul_lo_u32 v25, s54, v3
	.loc	1 171 20                        ; attention_bwd.py:171:20
	v_ashrrev_i32_e32 v26, 31, v25
	s_delay_alu instid0(VALU_DEP_1) | instskip(SKIP_2) | instid1(VALU_DEP_1)
	v_lshlrev_b64 v[11:12], 1, v[25:26]
	scratch_store_b64 off, v[13:14], off offset:2464 ; 8-byte Folded Spill
	v_add_co_u32 v3, vcc_lo, s71, v11
	v_add_co_ci_u32_e64 v6, null, s72, v12, vcc_lo
	s_delay_alu instid0(VALU_DEP_2) | instskip(SKIP_1) | instid1(VALU_DEP_3)
	.loc	1 171 51                        ; attention_bwd.py:171:51
	v_add_co_u32 v142, vcc_lo, v3, v251
	.loc	1 165 23 is_stmt 1              ; attention_bwd.py:165:23
	v_or_b32_e32 v3, 0x7a, v4
	.loc	1 171 51                        ; attention_bwd.py:171:51
	v_add_co_ci_u32_e64 v143, null, v6, v252, vcc_lo
	s_delay_alu instid0(VALU_DEP_2) | instskip(NEXT) | instid1(VALU_DEP_1)
	.loc	1 171 38 is_stmt 0              ; attention_bwd.py:171:38
	v_mul_lo_u32 v25, s54, v3
	.loc	1 171 20                        ; attention_bwd.py:171:20
	v_ashrrev_i32_e32 v26, 31, v25
	s_delay_alu instid0(VALU_DEP_1) | instskip(SKIP_2) | instid1(VALU_DEP_1)
	v_lshlrev_b64 v[9:10], 1, v[25:26]
	scratch_store_b64 off, v[11:12], off offset:2472 ; 8-byte Folded Spill
	v_add_co_u32 v3, vcc_lo, s71, v9
	v_add_co_ci_u32_e64 v6, null, s72, v10, vcc_lo
	s_delay_alu instid0(VALU_DEP_2) | instskip(SKIP_1) | instid1(VALU_DEP_3)
	.loc	1 171 51                        ; attention_bwd.py:171:51
	v_add_co_u32 v144, vcc_lo, v3, v251
	.loc	1 165 23 is_stmt 1              ; attention_bwd.py:165:23
	v_or_b32_e32 v3, 0x7c, v4
	.loc	1 171 51                        ; attention_bwd.py:171:51
	v_add_co_ci_u32_e64 v145, null, v6, v252, vcc_lo
	s_delay_alu instid0(VALU_DEP_2) | instskip(NEXT) | instid1(VALU_DEP_1)
	.loc	1 171 38 is_stmt 0              ; attention_bwd.py:171:38
	v_mul_lo_u32 v25, s54, v3
	.loc	1 171 20                        ; attention_bwd.py:171:20
	v_ashrrev_i32_e32 v26, 31, v25
	s_delay_alu instid0(VALU_DEP_1)
	v_lshlrev_b64 v[7:8], 1, v[25:26]
	.loc	1 171 16                        ; attention_bwd.py:171:16
	s_clause 0x2
	global_load_u16 v253, v[162:163], off
	global_load_u16 v26, v[160:161], off
	global_load_u16 v2, v[158:159], off
	s_clause 0x1                            ; 16-byte Folded Spill
	scratch_store_b64 off, v[9:10], off offset:2480
	scratch_store_b64 off, v[7:8], off offset:2488
	.loc	1 171 20                        ; attention_bwd.py:171:20
	v_add_co_u32 v3, vcc_lo, s71, v7
	s_delay_alu instid0(VALU_DEP_1) | instskip(NEXT) | instid1(VALU_DEP_2)
	v_add_co_ci_u32_e64 v6, null, s72, v8, vcc_lo
	.loc	1 171 51                        ; attention_bwd.py:171:51
	v_add_co_u32 v146, vcc_lo, v3, v251
	.loc	1 165 23 is_stmt 1              ; attention_bwd.py:165:23
	v_or_b32_e32 v3, 0x7e, v4
	s_delay_alu instid0(VALU_DEP_3) | instskip(NEXT) | instid1(VALU_DEP_2)
	.loc	1 171 51                        ; attention_bwd.py:171:51
	v_add_co_ci_u32_e64 v147, null, v6, v252, vcc_lo
	.loc	1 171 38 is_stmt 0              ; attention_bwd.py:171:38
	v_mul_lo_u32 v3, s54, v3
	s_delay_alu instid0(VALU_DEP_1) | instskip(NEXT) | instid1(VALU_DEP_1)
	.loc	1 171 20                        ; attention_bwd.py:171:20
	v_ashrrev_i32_e32 v4, 31, v3
	v_lshlrev_b64 v[5:6], 1, v[3:4]
	s_delay_alu instid0(VALU_DEP_1) | instskip(NEXT) | instid1(VALU_DEP_1)
	v_add_co_u32 v3, vcc_lo, s71, v5
	v_add_co_ci_u32_e64 v4, null, s72, v6, vcc_lo
	scratch_store_b64 off, v[5:6], off offset:2496 ; 8-byte Folded Spill
	.loc	1 171 51                        ; attention_bwd.py:171:51
	v_add_co_u32 v3, vcc_lo, v3, v251
	s_delay_alu instid0(VALU_DEP_1)
	v_add_co_ci_u32_e64 v4, null, v4, v252, vcc_lo
	.loc	1 171 16                        ; attention_bwd.py:171:16
	s_waitcnt vmcnt(3)
	scratch_store_b32 off, v0, off offset:160 ; 4-byte Folded Spill
	s_clause 0x2
	global_load_u16 v54, v[49:50], off
	global_load_u16 v38, v[52:53], off
	;; [unrolled: 1-line block ×3, first 2 shown]
	s_waitcnt vmcnt(3)
	scratch_store_b32 off, v2, off offset:232 ; 4-byte Folded Spill
	global_load_u16 v2, v[156:157], off
	s_waitcnt vmcnt(1)
	scratch_store_b32 off, v0, off offset:440 ; 4-byte Folded Spill
	global_load_u16 v0, v[57:58], off
	s_waitcnt vmcnt(1)
	scratch_store_b32 off, v2, off offset:64 ; 4-byte Folded Spill
	s_clause 0x2
	global_load_u16 v45, v[154:155], off
	global_load_u16 v25, v[152:153], off
	;; [unrolled: 1-line block ×3, first 2 shown]
	s_waitcnt vmcnt(3)
	scratch_store_b32 off, v0, off offset:192 ; 4-byte Folded Spill
	s_clause 0x2
	global_load_u16 v57, v[59:60], off
	global_load_u16 v40, v[61:62], off
	;; [unrolled: 1-line block ×3, first 2 shown]
	s_waitcnt vmcnt(3)
	scratch_store_b32 off, v2, off offset:248 ; 4-byte Folded Spill
	global_load_u16 v2, v[148:149], off
	s_waitcnt vmcnt(1)
	scratch_store_b32 off, v0, off offset:504 ; 4-byte Folded Spill
	global_load_u16 v0, v[65:66], off
	s_waitcnt vmcnt(1)
	scratch_store_b32 off, v2, off offset:96 ; 4-byte Folded Spill
	.loc	1 165 36 is_stmt 1              ; attention_bwd.py:165:36
	v_bfe_i32 v2, v29, 6, 1
	s_delay_alu instid0(VALU_DEP_1) | instskip(NEXT) | instid1(VALU_DEP_1)
	.loc	1 171 16                        ; attention_bwd.py:171:16
	v_and_b32_e32 v2, 0x90, v2
	v_xor_b32_e32 v56, v2, v1
	.loc	1 172 20                        ; attention_bwd.py:172:20
	v_add_co_u32 v1, vcc_lo, s35, v164
	s_delay_alu instid0(VALU_DEP_1)
	v_add_co_ci_u32_e64 v2, null, s70, v165, vcc_lo
	.loc	1 171 16                        ; attention_bwd.py:171:16
	s_waitcnt vmcnt(0)
	scratch_store_b32 off, v0, off offset:224 ; 4-byte Folded Spill
	s_clause 0x2
	global_load_u16 v59, v[67:68], off
	global_load_u16 v43, v[69:70], off
	;; [unrolled: 1-line block ×3, first 2 shown]
	s_waitcnt vmcnt(0)
	scratch_store_b32 off, v0, off offset:568 ; 4-byte Folded Spill
	global_load_u16 v0, v[73:74], off
	.loc	1 172 51                        ; attention_bwd.py:172:51
	v_add_co_u32 v73, vcc_lo, v1, v251
	s_delay_alu instid0(VALU_DEP_1) | instskip(SKIP_1) | instid1(VALU_DEP_1)
	v_add_co_ci_u32_e64 v74, null, v2, v252, vcc_lo
	.loc	1 172 20 is_stmt 0              ; attention_bwd.py:172:20
	v_add_co_u32 v1, vcc_lo, s35, v166
	v_add_co_ci_u32_e64 v2, null, s70, v167, vcc_lo
	.loc	1 171 16 is_stmt 1              ; attention_bwd.py:171:16
	s_waitcnt vmcnt(0)
	scratch_store_b32 off, v0, off offset:240 ; 4-byte Folded Spill
	s_clause 0x3
	global_load_u16 v61, v[75:76], off
	global_load_u16 v46, v[77:78], off
	;; [unrolled: 1-line block ×4, first 2 shown]
	s_clause 0x3                            ; 32-byte Folded Reload
	scratch_load_b64 v[81:82], off, off offset:1836
	scratch_load_b64 v[75:76], off, off offset:1812
	;; [unrolled: 1-line block ×4, first 2 shown]
	s_waitcnt vmcnt(4)
	scratch_store_b32 off, v0, off offset:280 ; 4-byte Folded Spill
	s_clause 0x3
	global_load_u16 v63, v[83:84], off
	global_load_u16 v49, v[85:86], off
	;; [unrolled: 1-line block ×4, first 2 shown]
	s_clause 0x1                            ; 16-byte Folded Reload
	scratch_load_b64 v[83:84], off, off offset:1844
	scratch_load_b64 v[85:86], off, off offset:1852
	s_waitcnt vmcnt(2)
	scratch_store_b32 off, v0, off offset:344 ; 4-byte Folded Spill
	s_clause 0x3
	global_load_u16 v65, v[91:92], off
	global_load_u16 v52, v[93:94], off
	global_load_u16 v36, v[95:96], off
	global_load_u16 v0, v[97:98], off
	s_waitcnt vmcnt(0)
	scratch_store_b32 off, v0, off offset:408 ; 4-byte Folded Spill
	s_clause 0x3
	global_load_u16 v67, v[99:100], off
	global_load_u16 v55, v[101:102], off
	global_load_u16 v39, v[103:104], off
	global_load_u16 v0, v[105:106], off
	;; [unrolled: 7-line block ×4, first 2 shown]
	global_load_u16 v70, v[126:127], off
	global_load_u16 v62, v[128:129], off
	;; [unrolled: 1-line block ×12, first 2 shown]
	.loc	1 172 51                        ; attention_bwd.py:172:51
	v_add_co_u32 v3, vcc_lo, v1, v251
	s_delay_alu instid0(VALU_DEP_1) | instskip(SKIP_3) | instid1(VALU_DEP_1)
	v_add_co_ci_u32_e64 v4, null, v2, v252, vcc_lo
	scratch_load_b64 v[1:2], off, off offset:1828 ; 8-byte Folded Reload
	.loc	1 172 20 is_stmt 0              ; attention_bwd.py:172:20
	s_waitcnt vmcnt(0)
	v_add_co_u32 v1, vcc_lo, s35, v1
	v_add_co_ci_u32_e64 v2, null, s70, v2, vcc_lo
	s_delay_alu instid0(VALU_DEP_2) | instskip(NEXT) | instid1(VALU_DEP_1)
	.loc	1 172 51                        ; attention_bwd.py:172:51
	v_add_co_u32 v27, vcc_lo, v1, v251
	v_add_co_ci_u32_e64 v28, null, v2, v252, vcc_lo
	scratch_load_b64 v[1:2], off, off offset:1820 ; 8-byte Folded Reload
	.loc	1 172 20                        ; attention_bwd.py:172:20
	s_waitcnt vmcnt(0)
	v_add_co_u32 v1, vcc_lo, s35, v1
	s_delay_alu instid0(VALU_DEP_1) | instskip(NEXT) | instid1(VALU_DEP_2)
	v_add_co_ci_u32_e64 v2, null, s70, v2, vcc_lo
	.loc	1 172 51                        ; attention_bwd.py:172:51
	v_add_co_u32 v1, vcc_lo, v1, v251
	s_delay_alu instid0(VALU_DEP_1) | instskip(SKIP_1) | instid1(VALU_DEP_1)
	v_add_co_ci_u32_e64 v2, null, v2, v252, vcc_lo
	.loc	1 172 20                        ; attention_bwd.py:172:20
	v_add_co_u32 v75, vcc_lo, s35, v75
	v_add_co_ci_u32_e64 v76, null, s70, v76, vcc_lo
	s_delay_alu instid0(VALU_DEP_2) | instskip(NEXT) | instid1(VALU_DEP_1)
	.loc	1 172 51                        ; attention_bwd.py:172:51
	v_add_co_u32 v75, vcc_lo, v75, v251
	v_add_co_ci_u32_e64 v76, null, v76, v252, vcc_lo
	.loc	1 172 20                        ; attention_bwd.py:172:20
	v_add_co_u32 v77, vcc_lo, s35, v77
	s_delay_alu instid0(VALU_DEP_1) | instskip(NEXT) | instid1(VALU_DEP_2)
	v_add_co_ci_u32_e64 v78, null, s70, v78, vcc_lo
	.loc	1 172 51                        ; attention_bwd.py:172:51
	v_add_co_u32 v77, vcc_lo, v77, v251
	s_delay_alu instid0(VALU_DEP_1) | instskip(SKIP_1) | instid1(VALU_DEP_1)
	v_add_co_ci_u32_e64 v78, null, v78, v252, vcc_lo
	.loc	1 172 20                        ; attention_bwd.py:172:20
	v_add_co_u32 v79, vcc_lo, s35, v79
	v_add_co_ci_u32_e64 v80, null, s70, v80, vcc_lo
	s_delay_alu instid0(VALU_DEP_2) | instskip(NEXT) | instid1(VALU_DEP_1)
	.loc	1 172 51                        ; attention_bwd.py:172:51
	v_add_co_u32 v79, vcc_lo, v79, v251
	v_add_co_ci_u32_e64 v80, null, v80, v252, vcc_lo
	.loc	1 172 20                        ; attention_bwd.py:172:20
	;; [unrolled: 15-line block ×24, first 2 shown]
	v_add_co_u32 v107, vcc_lo, s35, v41
	s_delay_alu instid0(VALU_DEP_1) | instskip(SKIP_1) | instid1(VALU_DEP_3)
	v_add_co_ci_u32_e64 v173, null, s70, v42, vcc_lo
	v_xor_b32_e32 v42, 32, v56
	.loc	1 172 51                        ; attention_bwd.py:172:51
	v_add_co_u32 v172, vcc_lo, v107, v251
	s_delay_alu instid0(VALU_DEP_1) | instskip(SKIP_1) | instid1(VALU_DEP_1)
	v_add_co_ci_u32_e64 v173, null, v173, v252, vcc_lo
	.loc	1 172 20                        ; attention_bwd.py:172:20
	v_add_co_u32 v107, vcc_lo, s35, v254
	v_add_co_ci_u32_e64 v175, null, s70, v255, vcc_lo
	s_delay_alu instid0(VALU_DEP_2) | instskip(NEXT) | instid1(VALU_DEP_1)
	.loc	1 172 51                        ; attention_bwd.py:172:51
	v_add_co_u32 v174, vcc_lo, v107, v251
	v_add_co_ci_u32_e64 v175, null, v175, v252, vcc_lo
	.loc	1 172 20                        ; attention_bwd.py:172:20
	v_add_co_u32 v107, vcc_lo, s35, v198
	s_delay_alu instid0(VALU_DEP_1) | instskip(NEXT) | instid1(VALU_DEP_2)
	v_add_co_ci_u32_e64 v177, null, s70, v199, vcc_lo
	.loc	1 172 51                        ; attention_bwd.py:172:51
	v_add_co_u32 v176, vcc_lo, v107, v251
	s_delay_alu instid0(VALU_DEP_1) | instskip(SKIP_1) | instid1(VALU_DEP_1)
	v_add_co_ci_u32_e64 v177, null, v177, v252, vcc_lo
	.loc	1 172 20                        ; attention_bwd.py:172:20
	v_add_co_u32 v107, vcc_lo, s35, v23
	v_add_co_ci_u32_e64 v179, null, s70, v24, vcc_lo
	s_delay_alu instid0(VALU_DEP_2) | instskip(NEXT) | instid1(VALU_DEP_1)
	.loc	1 172 51                        ; attention_bwd.py:172:51
	v_add_co_u32 v178, vcc_lo, v107, v251
	v_add_co_ci_u32_e64 v179, null, v179, v252, vcc_lo
	.loc	1 172 20                        ; attention_bwd.py:172:20
	v_add_co_u32 v107, vcc_lo, s35, v21
	s_delay_alu instid0(VALU_DEP_1) | instskip(NEXT) | instid1(VALU_DEP_2)
	v_add_co_ci_u32_e64 v181, null, s70, v22, vcc_lo
	;; [unrolled: 15-line block ×3, first 2 shown]
	.loc	1 172 51                        ; attention_bwd.py:172:51
	v_add_co_u32 v184, vcc_lo, v107, v251
	s_delay_alu instid0(VALU_DEP_1) | instskip(SKIP_1) | instid1(VALU_DEP_1)
	v_add_co_ci_u32_e64 v185, null, v185, v252, vcc_lo
	.loc	1 172 20                        ; attention_bwd.py:172:20
	v_add_co_u32 v107, vcc_lo, s35, v15
	v_add_co_ci_u32_e64 v187, null, s70, v16, vcc_lo
	s_delay_alu instid0(VALU_DEP_2) | instskip(NEXT) | instid1(VALU_DEP_1)
	.loc	1 172 51                        ; attention_bwd.py:172:51
	v_add_co_u32 v186, vcc_lo, v107, v251
	v_add_co_ci_u32_e64 v187, null, v187, v252, vcc_lo
	.loc	1 172 20                        ; attention_bwd.py:172:20
	v_add_co_u32 v107, vcc_lo, s35, v13
	s_delay_alu instid0(VALU_DEP_1) | instskip(SKIP_1) | instid1(VALU_DEP_3)
	v_add_co_ci_u32_e64 v189, null, s70, v14, vcc_lo
	v_xor_b32_e32 v14, 0x60, v56
	.loc	1 172 51                        ; attention_bwd.py:172:51
	v_add_co_u32 v188, vcc_lo, v107, v251
	s_delay_alu instid0(VALU_DEP_1) | instskip(SKIP_1) | instid1(VALU_DEP_4)
	v_add_co_ci_u32_e64 v189, null, v189, v252, vcc_lo
	.loc	1 172 20                        ; attention_bwd.py:172:20
	v_add_co_u32 v107, vcc_lo, s35, v11
	.loc	1 171 16 is_stmt 1              ; attention_bwd.py:171:16
	v_add_nc_u32_e32 v201, 0, v14
	.loc	1 172 20                        ; attention_bwd.py:172:20
	v_add_co_ci_u32_e64 v191, null, s70, v12, vcc_lo
	s_delay_alu instid0(VALU_DEP_3) | instskip(NEXT) | instid1(VALU_DEP_1)
	.loc	1 172 51 is_stmt 0              ; attention_bwd.py:172:51
	v_add_co_u32 v190, vcc_lo, v107, v251
	v_add_co_ci_u32_e64 v191, null, v191, v252, vcc_lo
	.loc	1 172 20                        ; attention_bwd.py:172:20
	v_add_co_u32 v107, vcc_lo, s35, v9
	s_delay_alu instid0(VALU_DEP_1) | instskip(NEXT) | instid1(VALU_DEP_2)
	v_add_co_ci_u32_e64 v193, null, s70, v10, vcc_lo
	.loc	1 172 51                        ; attention_bwd.py:172:51
	v_add_co_u32 v192, vcc_lo, v107, v251
	s_delay_alu instid0(VALU_DEP_1) | instskip(SKIP_1) | instid1(VALU_DEP_1)
	v_add_co_ci_u32_e64 v193, null, v193, v252, vcc_lo
	.loc	1 172 20                        ; attention_bwd.py:172:20
	v_add_co_u32 v107, vcc_lo, s35, v7
	v_add_co_ci_u32_e64 v195, null, s70, v8, vcc_lo
	s_delay_alu instid0(VALU_DEP_2) | instskip(NEXT) | instid1(VALU_DEP_1)
	.loc	1 172 51                        ; attention_bwd.py:172:51
	v_add_co_u32 v194, vcc_lo, v107, v251
	v_add_co_ci_u32_e64 v195, null, v195, v252, vcc_lo
	.loc	1 172 20                        ; attention_bwd.py:172:20
	v_add_co_u32 v107, vcc_lo, s35, v5
	.loc	1 171 16 is_stmt 1              ; attention_bwd.py:171:16
	scratch_load_b32 v5, off, off offset:232 ; 4-byte Folded Reload
	.loc	1 172 20                        ; attention_bwd.py:172:20
	v_add_co_ci_u32_e64 v197, null, s70, v6, vcc_lo
	.loc	1 172 51 is_stmt 0              ; attention_bwd.py:172:51
	v_add_co_u32 v196, vcc_lo, v107, v251
	.loc	1 171 16 is_stmt 1              ; attention_bwd.py:171:16
	v_add_nc_u32_e32 v107, 0, v56
	s_delay_alu instid0(VALU_DEP_3)
	.loc	1 172 51                        ; attention_bwd.py:172:51
	v_add_co_ci_u32_e64 v197, null, v197, v252, vcc_lo
	.loc	1 171 16                        ; attention_bwd.py:171:16
	ds_store_b16 v107, v253
	ds_store_b16 v107, v45 offset:1024
	ds_store_b16 v107, v48 offset:2048
	ds_store_b16 v107, v51 offset:3072
	ds_store_b16 v107, v54 offset:4096
	ds_store_b16 v107, v57 offset:5120
	ds_store_b16 v107, v59 offset:6144
	ds_store_b16 v107, v61 offset:7168
	ds_store_b16 v107, v63 offset:8192
	ds_store_b16 v107, v65 offset:9216
	ds_store_b16 v107, v67 offset:10240
	ds_store_b16 v107, v68 offset:11264
	ds_store_b16 v107, v69 offset:12288
	ds_store_b16 v107, v70 offset:13312
	ds_store_b16 v107, v71 offset:14336
	ds_store_b16 v107, v72 offset:15360
	v_add_nc_u32_e32 v72, 0, v42
	ds_store_b16 v72, v26 offset:256
	ds_store_b16 v72, v25 offset:1280
	;; [unrolled: 1-line block ×16, first 2 shown]
	v_xor_b32_e32 v26, 64, v56
	s_delay_alu instid0(VALU_DEP_1)
	v_add_nc_u32_e32 v200, 0, v26
	s_waitcnt vmcnt(0)
	ds_store_b16 v200, v5 offset:512
	scratch_load_b32 v5, off, off offset:248 ; 4-byte Folded Reload
	s_waitcnt vmcnt(0)
	ds_store_b16 v200, v5 offset:1536
	scratch_load_b32 v5, off, off offset:312 ; 4-byte Folded Reload
	;; [unrolled: 3-line block ×6, first 2 shown]
	s_waitcnt vmcnt(0)
	ds_store_b16 v200, v5 offset:6656
	ds_store_b16 v200, v30 offset:7680
	ds_store_b16 v200, v33 offset:8704
	ds_store_b16 v200, v36 offset:9728
	ds_store_b16 v200, v39 offset:10752
	ds_store_b16 v200, v250 offset:11776
	ds_store_b16 v200, v44 offset:12800
	ds_store_b16 v200, v47 offset:13824
	ds_store_b16 v200, v50 offset:14848
	ds_store_b16 v200, v53 offset:15872
	scratch_load_b32 v5, off, off offset:64 ; 4-byte Folded Reload
	s_waitcnt vmcnt(0)
	ds_store_b16 v201, v5 offset:768
	scratch_load_b32 v5, off, off offset:96 ; 4-byte Folded Reload
	s_waitcnt vmcnt(0)
	ds_store_b16 v201, v5 offset:1792
	;; [unrolled: 3-line block ×12, first 2 shown]
	ds_store_b16 v201, v0 offset:13056
	ds_store_b16 v201, v31 offset:14080
	ds_store_b16 v201, v34 offset:15104
	ds_store_b16 v201, v37 offset:16128
	s_waitcnt lgkmcnt(0)
	s_waitcnt_vscnt null, 0x0
	s_barrier
	buffer_gl0_inv
	.loc	1 172 16                        ; attention_bwd.py:172:16
	s_clause 0x5
	global_load_u16 v8, v[73:74], off
	global_load_u16 v9, v[75:76], off
	;; [unrolled: 1-line block ×6, first 2 shown]
	v_mov_b32_e32 v80, v29
	s_clause 0x1f
	global_load_u16 v10, v[81:82], off
	global_load_u16 v1, v[1:2], off
	;; [unrolled: 1-line block ×32, first 2 shown]
	s_clause 0x19
	global_load_u16 v40, v[148:149], off
	global_load_u16 v41, v[140:141], off
	;; [unrolled: 1-line block ×26, first 2 shown]
	scratch_load_b32 v0, off, off offset:32 ; 4-byte Folded Reload
	.loc	1 171 16                        ; attention_bwd.py:171:16
	s_waitcnt vmcnt(0)
	v_xor_b32_e32 v66, 16, v0
	v_xor_b32_e32 v68, 48, v0
	;; [unrolled: 1-line block ×7, first 2 shown]
	v_add_nc_u32_e32 v99, 0, v0
	v_add_nc_u32_e32 v124, 0, v66
	;; [unrolled: 1-line block ×8, first 2 shown]
	ds_load_b128 v[169:172], v124
	ds_load_b128 v[165:168], v99
	ds_load_b128 v[157:160], v99 offset:8192
	ds_load_b128 v[161:164], v124 offset:8192
	ds_load_b128 v[153:156], v123
	ds_load_b128 v[149:152], v122
	ds_load_b128 v[141:144], v122 offset:8192
	ds_load_b128 v[145:148], v123 offset:8192
	;; [unrolled: 4-line block ×4, first 2 shown]
	.loc	1 172 16                        ; attention_bwd.py:172:16
	s_waitcnt lgkmcnt(0)
	s_barrier
	buffer_gl0_inv
	ds_store_b16 v107, v8
	ds_store_b16 v107, v9 offset:1024
	ds_store_b16 v107, v2 offset:2048
	;; [unrolled: 1-line block ×62, first 2 shown]
.Ltmp5:
	.loc	1 41 25                         ; attention_bwd.py:41:25 @[ attention_bwd.py:200:26 ]
	v_and_b32_e32 v1, 31, v80
	v_dual_mov_b32 v33, 0 :: v_dual_mov_b32 v34, 0
	s_clause 0x3                            ; 16-byte Folded Spill
	scratch_store_b32 off, v107, off offset:2176
	scratch_store_b32 off, v72, off offset:2188
	;; [unrolled: 1-line block ×4, first 2 shown]
.Ltmp6:
	.loc	1 172 16                        ; attention_bwd.py:172:16
	ds_store_b16 v201, v64 offset:16128
	s_waitcnt lgkmcnt(0)
	s_waitcnt_vscnt null, 0x0
	s_barrier
	buffer_gl0_inv
.Ltmp7:
	.loc	1 41 36                         ; attention_bwd.py:41:36 @[ attention_bwd.py:200:26 ]
	v_mul_lo_u32 v3, s54, v1
	.loc	1 41 56 is_stmt 0               ; attention_bwd.py:41:56 @[ attention_bwd.py:200:26 ]
	v_lshrrev_b32_e32 v1, 5, v80
	s_delay_alu instid0(VALU_DEP_1) | instskip(NEXT) | instid1(VALU_DEP_3)
	.loc	1 41 67                         ; attention_bwd.py:41:67 @[ attention_bwd.py:200:26 ]
	v_mul_lo_u32 v1, s55, v1
	.loc	1 41 18                         ; attention_bwd.py:41:18 @[ attention_bwd.py:200:26 ]
	v_ashrrev_i32_e32 v4, 31, v3
	s_delay_alu instid0(VALU_DEP_1) | instskip(NEXT) | instid1(VALU_DEP_3)
	v_lshlrev_b64 v[81:82], 1, v[3:4]
	.loc	1 41 49                         ; attention_bwd.py:41:49 @[ attention_bwd.py:200:26 ]
	v_ashrrev_i32_e32 v2, 31, v1
	s_delay_alu instid0(VALU_DEP_1) | instskip(NEXT) | instid1(VALU_DEP_3)
	v_lshlrev_b64 v[83:84], 1, v[1:2]
	.loc	1 41 18                         ; attention_bwd.py:41:18 @[ attention_bwd.py:200:26 ]
	v_add_co_u32 v3, vcc_lo, s74, v81
	s_delay_alu instid0(VALU_DEP_1)
	v_add_co_ci_u32_e64 v4, null, s75, v82, vcc_lo
	.loc	1 48 21 is_stmt 1               ; attention_bwd.py:48:21 @[ attention_bwd.py:200:26 ]
	s_cbranch_scc1 .LBB0_2
; %bb.1:
	.loc	1 41 49                         ; attention_bwd.py:41:49 @[ attention_bwd.py:200:26 ]
	v_add_co_u32 v5, vcc_lo, v3, v83
	s_delay_alu instid0(VALU_DEP_1)
	v_add_co_ci_u32_e64 v6, null, v4, v84, vcc_lo
	.loc	1 48 21                         ; attention_bwd.py:48:21 @[ attention_bwd.py:200:26 ]
	global_load_u16 v34, v[5:6], off
.Ltmp8:
.LBB0_2:
	.loc	1 171 69                        ; attention_bwd.py:171:69
	s_lshl_b32 s80, s55, 2
.Ltmp9:
	.loc	1 48 21                         ; attention_bwd.py:48:21 @[ attention_bwd.py:200:26 ]
	v_cndmask_b32_e64 v2, 0, 1, s3
	.loc	1 41 67                         ; attention_bwd.py:41:67 @[ attention_bwd.py:200:26 ]
	v_add_nc_u32_e32 v5, s80, v1
	s_clause 0x1                            ; 32-byte Folded Spill
	scratch_store_b128 off, v[85:88], off offset:504
	scratch_store_b128 off, v[89:92], off offset:520
	.loc	1 48 21                         ; attention_bwd.py:48:21 @[ attention_bwd.py:200:26 ]
	s_and_not1_b32 vcc_lo, exec_lo, s3
	v_cmp_ne_u32_e64 s2, 1, v2
	.loc	1 41 49                         ; attention_bwd.py:41:49 @[ attention_bwd.py:200:26 ]
	v_ashrrev_i32_e32 v6, 31, v5
	s_delay_alu instid0(VALU_DEP_1)
	v_lshlrev_b64 v[85:86], 1, v[5:6]
	.loc	1 48 21                         ; attention_bwd.py:48:21 @[ attention_bwd.py:200:26 ]
	s_cbranch_vccnz .LBB0_4
; %bb.3:
	.loc	1 0 21 is_stmt 0                ; attention_bwd.py:0:21
	s_delay_alu instid0(VALU_DEP_1) | instskip(NEXT) | instid1(VALU_DEP_1)
	.loc	1 41 49 is_stmt 1               ; attention_bwd.py:41:49 @[ attention_bwd.py:200:26 ]
	v_add_co_u32 v5, vcc_lo, v3, v85
	v_add_co_ci_u32_e64 v6, null, v4, v86, vcc_lo
	.loc	1 48 21                         ; attention_bwd.py:48:21 @[ attention_bwd.py:200:26 ]
	global_load_u16 v33, v[5:6], off
.Ltmp10:
.LBB0_4:
	.loc	1 171 69                        ; attention_bwd.py:171:69
	s_lshl_b32 s81, s55, 3
	v_mov_b32_e32 v35, 0
	v_dual_mov_b32 v36, 0 :: v_dual_add_nc_u32 v5, s81, v1
.Ltmp11:
	.loc	1 48 21                         ; attention_bwd.py:48:21 @[ attention_bwd.py:200:26 ]
	s_and_b32 vcc_lo, exec_lo, s2
	s_delay_alu instid0(VALU_DEP_1) | instskip(NEXT) | instid1(VALU_DEP_1)
	.loc	1 41 49                         ; attention_bwd.py:41:49 @[ attention_bwd.py:200:26 ]
	v_ashrrev_i32_e32 v6, 31, v5
	v_lshlrev_b64 v[87:88], 1, v[5:6]
	.loc	1 48 21                         ; attention_bwd.py:48:21 @[ attention_bwd.py:200:26 ]
	s_cbranch_vccnz .LBB0_6
; %bb.5:
	.loc	1 0 21 is_stmt 0                ; attention_bwd.py:0:21
	s_delay_alu instid0(VALU_DEP_1) | instskip(NEXT) | instid1(VALU_DEP_1)
	.loc	1 41 49 is_stmt 1               ; attention_bwd.py:41:49 @[ attention_bwd.py:200:26 ]
	v_add_co_u32 v5, vcc_lo, v3, v87
	v_add_co_ci_u32_e64 v6, null, v4, v88, vcc_lo
	.loc	1 48 21                         ; attention_bwd.py:48:21 @[ attention_bwd.py:200:26 ]
	global_load_u16 v36, v[5:6], off
.Ltmp12:
.LBB0_6:
	.loc	1 171 69                        ; attention_bwd.py:171:69
	s_mul_i32 s82, s55, 12
.Ltmp13:
	.loc	1 48 21                         ; attention_bwd.py:48:21 @[ attention_bwd.py:200:26 ]
	s_and_b32 vcc_lo, exec_lo, s2
	.loc	1 41 67                         ; attention_bwd.py:41:67 @[ attention_bwd.py:200:26 ]
	v_add_nc_u32_e32 v5, s82, v1
	s_delay_alu instid0(VALU_DEP_1) | instskip(NEXT) | instid1(VALU_DEP_1)
	.loc	1 41 49 is_stmt 0               ; attention_bwd.py:41:49 @[ attention_bwd.py:200:26 ]
	v_ashrrev_i32_e32 v6, 31, v5
	v_lshlrev_b64 v[89:90], 1, v[5:6]
	.loc	1 48 21 is_stmt 1               ; attention_bwd.py:48:21 @[ attention_bwd.py:200:26 ]
	s_cbranch_vccnz .LBB0_8
; %bb.7:
	.loc	1 0 21 is_stmt 0                ; attention_bwd.py:0:21
	s_delay_alu instid0(VALU_DEP_1) | instskip(NEXT) | instid1(VALU_DEP_1)
	.loc	1 41 49 is_stmt 1               ; attention_bwd.py:41:49 @[ attention_bwd.py:200:26 ]
	v_add_co_u32 v5, vcc_lo, v3, v89
	v_add_co_ci_u32_e64 v6, null, v4, v90, vcc_lo
	.loc	1 48 21                         ; attention_bwd.py:48:21 @[ attention_bwd.py:200:26 ]
	global_load_u16 v35, v[5:6], off
.Ltmp14:
.LBB0_8:
	.loc	1 171 69                        ; attention_bwd.py:171:69
	s_lshl_b32 s83, s55, 4
	v_mov_b32_e32 v37, 0
	v_dual_mov_b32 v38, 0 :: v_dual_add_nc_u32 v5, s83, v1
.Ltmp15:
	.loc	1 48 21                         ; attention_bwd.py:48:21 @[ attention_bwd.py:200:26 ]
	s_and_b32 vcc_lo, exec_lo, s2
	s_delay_alu instid0(VALU_DEP_1) | instskip(NEXT) | instid1(VALU_DEP_1)
	.loc	1 41 49                         ; attention_bwd.py:41:49 @[ attention_bwd.py:200:26 ]
	v_ashrrev_i32_e32 v6, 31, v5
	v_lshlrev_b64 v[91:92], 1, v[5:6]
	.loc	1 48 21                         ; attention_bwd.py:48:21 @[ attention_bwd.py:200:26 ]
	s_cbranch_vccnz .LBB0_10
; %bb.9:
	.loc	1 0 21 is_stmt 0                ; attention_bwd.py:0:21
	s_delay_alu instid0(VALU_DEP_1) | instskip(NEXT) | instid1(VALU_DEP_1)
	.loc	1 41 49 is_stmt 1               ; attention_bwd.py:41:49 @[ attention_bwd.py:200:26 ]
	v_add_co_u32 v5, vcc_lo, v3, v91
	v_add_co_ci_u32_e64 v6, null, v4, v92, vcc_lo
	.loc	1 48 21                         ; attention_bwd.py:48:21 @[ attention_bwd.py:200:26 ]
	global_load_u16 v38, v[5:6], off
.Ltmp16:
.LBB0_10:
	.loc	1 171 69                        ; attention_bwd.py:171:69
	s_mul_i32 s84, s55, 20
.Ltmp17:
	.loc	1 48 21                         ; attention_bwd.py:48:21 @[ attention_bwd.py:200:26 ]
	s_and_b32 vcc_lo, exec_lo, s2
	.loc	1 41 67                         ; attention_bwd.py:41:67 @[ attention_bwd.py:200:26 ]
	v_add_nc_u32_e32 v5, s84, v1
	s_delay_alu instid0(VALU_DEP_1) | instskip(NEXT) | instid1(VALU_DEP_1)
	.loc	1 41 49 is_stmt 0               ; attention_bwd.py:41:49 @[ attention_bwd.py:200:26 ]
	v_ashrrev_i32_e32 v6, 31, v5
	v_lshlrev_b64 v[93:94], 1, v[5:6]
	.loc	1 48 21 is_stmt 1               ; attention_bwd.py:48:21 @[ attention_bwd.py:200:26 ]
	s_cbranch_vccnz .LBB0_12
; %bb.11:
	.loc	1 0 21 is_stmt 0                ; attention_bwd.py:0:21
	s_delay_alu instid0(VALU_DEP_1) | instskip(NEXT) | instid1(VALU_DEP_1)
	.loc	1 41 49 is_stmt 1               ; attention_bwd.py:41:49 @[ attention_bwd.py:200:26 ]
	v_add_co_u32 v5, vcc_lo, v3, v93
	v_add_co_ci_u32_e64 v6, null, v4, v94, vcc_lo
	.loc	1 48 21                         ; attention_bwd.py:48:21 @[ attention_bwd.py:200:26 ]
	global_load_u16 v37, v[5:6], off
.Ltmp18:
.LBB0_12:
	.loc	1 171 69                        ; attention_bwd.py:171:69
	s_mul_i32 s85, s55, 24
	v_mov_b32_e32 v39, 0
	v_dual_mov_b32 v40, 0 :: v_dual_add_nc_u32 v5, s85, v1
.Ltmp19:
	.loc	1 48 21                         ; attention_bwd.py:48:21 @[ attention_bwd.py:200:26 ]
	s_and_b32 vcc_lo, exec_lo, s2
	s_delay_alu instid0(VALU_DEP_1) | instskip(NEXT) | instid1(VALU_DEP_1)
	.loc	1 41 49                         ; attention_bwd.py:41:49 @[ attention_bwd.py:200:26 ]
	v_ashrrev_i32_e32 v6, 31, v5
	v_lshlrev_b64 v[95:96], 1, v[5:6]
	.loc	1 48 21                         ; attention_bwd.py:48:21 @[ attention_bwd.py:200:26 ]
	s_cbranch_vccnz .LBB0_14
; %bb.13:
	.loc	1 0 21 is_stmt 0                ; attention_bwd.py:0:21
	s_delay_alu instid0(VALU_DEP_1) | instskip(NEXT) | instid1(VALU_DEP_1)
	.loc	1 41 49 is_stmt 1               ; attention_bwd.py:41:49 @[ attention_bwd.py:200:26 ]
	v_add_co_u32 v5, vcc_lo, v3, v95
	v_add_co_ci_u32_e64 v6, null, v4, v96, vcc_lo
	.loc	1 48 21                         ; attention_bwd.py:48:21 @[ attention_bwd.py:200:26 ]
	global_load_u16 v40, v[5:6], off
.Ltmp20:
.LBB0_14:
	.loc	1 171 69                        ; attention_bwd.py:171:69
	s_mul_i32 s86, s55, 28
.Ltmp21:
	.loc	1 48 21                         ; attention_bwd.py:48:21 @[ attention_bwd.py:200:26 ]
	s_and_b32 vcc_lo, exec_lo, s2
	.loc	1 41 67                         ; attention_bwd.py:41:67 @[ attention_bwd.py:200:26 ]
	v_add_nc_u32_e32 v5, s86, v1
	s_delay_alu instid0(VALU_DEP_1) | instskip(NEXT) | instid1(VALU_DEP_1)
	.loc	1 41 49 is_stmt 0               ; attention_bwd.py:41:49 @[ attention_bwd.py:200:26 ]
	v_ashrrev_i32_e32 v6, 31, v5
	v_lshlrev_b64 v[102:103], 1, v[5:6]
	.loc	1 48 21 is_stmt 1               ; attention_bwd.py:48:21 @[ attention_bwd.py:200:26 ]
	s_cbranch_vccnz .LBB0_16
; %bb.15:
	.loc	1 0 21 is_stmt 0                ; attention_bwd.py:0:21
	s_delay_alu instid0(VALU_DEP_1) | instskip(NEXT) | instid1(VALU_DEP_1)
	.loc	1 41 49 is_stmt 1               ; attention_bwd.py:41:49 @[ attention_bwd.py:200:26 ]
	v_add_co_u32 v5, vcc_lo, v3, v102
	v_add_co_ci_u32_e64 v6, null, v4, v103, vcc_lo
	.loc	1 48 21                         ; attention_bwd.py:48:21 @[ attention_bwd.py:200:26 ]
	global_load_u16 v39, v[5:6], off
.Ltmp22:
.LBB0_16:
	.loc	1 171 69                        ; attention_bwd.py:171:69
	s_lshl_b32 s87, s55, 5
	v_mov_b32_e32 v41, 0
	v_dual_mov_b32 v42, 0 :: v_dual_add_nc_u32 v5, s87, v1
.Ltmp23:
	.loc	1 48 21                         ; attention_bwd.py:48:21 @[ attention_bwd.py:200:26 ]
	s_and_b32 vcc_lo, exec_lo, s2
	s_delay_alu instid0(VALU_DEP_1) | instskip(NEXT) | instid1(VALU_DEP_1)
	.loc	1 41 49                         ; attention_bwd.py:41:49 @[ attention_bwd.py:200:26 ]
	v_ashrrev_i32_e32 v6, 31, v5
	v_lshlrev_b64 v[104:105], 1, v[5:6]
	.loc	1 48 21                         ; attention_bwd.py:48:21 @[ attention_bwd.py:200:26 ]
	s_cbranch_vccnz .LBB0_18
; %bb.17:
	.loc	1 0 21 is_stmt 0                ; attention_bwd.py:0:21
	s_delay_alu instid0(VALU_DEP_1) | instskip(NEXT) | instid1(VALU_DEP_1)
	.loc	1 41 49 is_stmt 1               ; attention_bwd.py:41:49 @[ attention_bwd.py:200:26 ]
	v_add_co_u32 v5, vcc_lo, v3, v104
	v_add_co_ci_u32_e64 v6, null, v4, v105, vcc_lo
	.loc	1 48 21                         ; attention_bwd.py:48:21 @[ attention_bwd.py:200:26 ]
	global_load_u16 v42, v[5:6], off
.Ltmp24:
.LBB0_18:
	.loc	1 171 69                        ; attention_bwd.py:171:69
	s_mul_i32 s88, s55, 36
.Ltmp25:
	.loc	1 48 21                         ; attention_bwd.py:48:21 @[ attention_bwd.py:200:26 ]
	s_and_b32 vcc_lo, exec_lo, s2
	.loc	1 41 67                         ; attention_bwd.py:41:67 @[ attention_bwd.py:200:26 ]
	v_add_nc_u32_e32 v5, s88, v1
	s_clause 0x1                            ; 32-byte Folded Spill
	scratch_store_b128 off, v[110:113], off offset:536
	scratch_store_b128 off, v[114:117], off offset:552
	.loc	1 41 49 is_stmt 0               ; attention_bwd.py:41:49 @[ attention_bwd.py:200:26 ]
	v_ashrrev_i32_e32 v6, 31, v5
	s_delay_alu instid0(VALU_DEP_1)
	v_lshlrev_b64 v[106:107], 1, v[5:6]
	.loc	1 48 21 is_stmt 1               ; attention_bwd.py:48:21 @[ attention_bwd.py:200:26 ]
	s_cbranch_vccnz .LBB0_20
; %bb.19:
	.loc	1 0 21 is_stmt 0                ; attention_bwd.py:0:21
	s_delay_alu instid0(VALU_DEP_1) | instskip(NEXT) | instid1(VALU_DEP_1)
	.loc	1 41 49 is_stmt 1               ; attention_bwd.py:41:49 @[ attention_bwd.py:200:26 ]
	v_add_co_u32 v5, vcc_lo, v3, v106
	v_add_co_ci_u32_e64 v6, null, v4, v107, vcc_lo
	.loc	1 48 21                         ; attention_bwd.py:48:21 @[ attention_bwd.py:200:26 ]
	global_load_u16 v41, v[5:6], off
.Ltmp26:
.LBB0_20:
	.loc	1 171 69                        ; attention_bwd.py:171:69
	s_mul_i32 s89, s55, 40
	v_mov_b32_e32 v43, 0
	v_dual_mov_b32 v44, 0 :: v_dual_add_nc_u32 v5, s89, v1
.Ltmp27:
	.loc	1 48 21                         ; attention_bwd.py:48:21 @[ attention_bwd.py:200:26 ]
	s_and_b32 vcc_lo, exec_lo, s2
	s_delay_alu instid0(VALU_DEP_1) | instskip(NEXT) | instid1(VALU_DEP_1)
	.loc	1 41 49                         ; attention_bwd.py:41:49 @[ attention_bwd.py:200:26 ]
	v_ashrrev_i32_e32 v6, 31, v5
	v_lshlrev_b64 v[110:111], 1, v[5:6]
	.loc	1 48 21                         ; attention_bwd.py:48:21 @[ attention_bwd.py:200:26 ]
	s_cbranch_vccnz .LBB0_22
; %bb.21:
	.loc	1 0 21 is_stmt 0                ; attention_bwd.py:0:21
	s_delay_alu instid0(VALU_DEP_1) | instskip(NEXT) | instid1(VALU_DEP_1)
	.loc	1 41 49 is_stmt 1               ; attention_bwd.py:41:49 @[ attention_bwd.py:200:26 ]
	v_add_co_u32 v5, vcc_lo, v3, v110
	v_add_co_ci_u32_e64 v6, null, v4, v111, vcc_lo
	.loc	1 48 21                         ; attention_bwd.py:48:21 @[ attention_bwd.py:200:26 ]
	global_load_u16 v44, v[5:6], off
.Ltmp28:
.LBB0_22:
	.loc	1 171 69                        ; attention_bwd.py:171:69
	s_mul_i32 s90, s55, 44
.Ltmp29:
	.loc	1 48 21                         ; attention_bwd.py:48:21 @[ attention_bwd.py:200:26 ]
	s_and_b32 vcc_lo, exec_lo, s2
	.loc	1 41 67                         ; attention_bwd.py:41:67 @[ attention_bwd.py:200:26 ]
	v_add_nc_u32_e32 v5, s90, v1
	s_delay_alu instid0(VALU_DEP_1) | instskip(NEXT) | instid1(VALU_DEP_1)
	.loc	1 41 49 is_stmt 0               ; attention_bwd.py:41:49 @[ attention_bwd.py:200:26 ]
	v_ashrrev_i32_e32 v6, 31, v5
	v_lshlrev_b64 v[112:113], 1, v[5:6]
	.loc	1 48 21 is_stmt 1               ; attention_bwd.py:48:21 @[ attention_bwd.py:200:26 ]
	s_cbranch_vccnz .LBB0_24
; %bb.23:
	.loc	1 0 21 is_stmt 0                ; attention_bwd.py:0:21
	s_delay_alu instid0(VALU_DEP_1) | instskip(NEXT) | instid1(VALU_DEP_1)
	.loc	1 41 49 is_stmt 1               ; attention_bwd.py:41:49 @[ attention_bwd.py:200:26 ]
	v_add_co_u32 v5, vcc_lo, v3, v112
	v_add_co_ci_u32_e64 v6, null, v4, v113, vcc_lo
	.loc	1 48 21                         ; attention_bwd.py:48:21 @[ attention_bwd.py:200:26 ]
	global_load_u16 v43, v[5:6], off
.Ltmp30:
.LBB0_24:
	.loc	1 171 69                        ; attention_bwd.py:171:69
	s_mul_i32 s91, s55, 48
	v_mov_b32_e32 v45, 0
	v_dual_mov_b32 v46, 0 :: v_dual_add_nc_u32 v5, s91, v1
.Ltmp31:
	.loc	1 48 21                         ; attention_bwd.py:48:21 @[ attention_bwd.py:200:26 ]
	s_and_b32 vcc_lo, exec_lo, s2
	s_delay_alu instid0(VALU_DEP_1) | instskip(NEXT) | instid1(VALU_DEP_1)
	.loc	1 41 49                         ; attention_bwd.py:41:49 @[ attention_bwd.py:200:26 ]
	v_ashrrev_i32_e32 v6, 31, v5
	v_lshlrev_b64 v[114:115], 1, v[5:6]
	.loc	1 48 21                         ; attention_bwd.py:48:21 @[ attention_bwd.py:200:26 ]
	s_cbranch_vccnz .LBB0_26
; %bb.25:
	.loc	1 0 21 is_stmt 0                ; attention_bwd.py:0:21
	s_delay_alu instid0(VALU_DEP_1) | instskip(NEXT) | instid1(VALU_DEP_1)
	.loc	1 41 49 is_stmt 1               ; attention_bwd.py:41:49 @[ attention_bwd.py:200:26 ]
	v_add_co_u32 v5, vcc_lo, v3, v114
	v_add_co_ci_u32_e64 v6, null, v4, v115, vcc_lo
	.loc	1 48 21                         ; attention_bwd.py:48:21 @[ attention_bwd.py:200:26 ]
	global_load_u16 v46, v[5:6], off
.Ltmp32:
.LBB0_26:
	.loc	1 171 69                        ; attention_bwd.py:171:69
	s_mul_i32 s92, s55, 52
.Ltmp33:
	.loc	1 48 21                         ; attention_bwd.py:48:21 @[ attention_bwd.py:200:26 ]
	s_and_b32 vcc_lo, exec_lo, s2
	.loc	1 41 67                         ; attention_bwd.py:41:67 @[ attention_bwd.py:200:26 ]
	v_add_nc_u32_e32 v5, s92, v1
	s_delay_alu instid0(VALU_DEP_1) | instskip(NEXT) | instid1(VALU_DEP_1)
	.loc	1 41 49 is_stmt 0               ; attention_bwd.py:41:49 @[ attention_bwd.py:200:26 ]
	v_ashrrev_i32_e32 v6, 31, v5
	v_lshlrev_b64 v[116:117], 1, v[5:6]
	.loc	1 48 21 is_stmt 1               ; attention_bwd.py:48:21 @[ attention_bwd.py:200:26 ]
	s_cbranch_vccnz .LBB0_28
; %bb.27:
	.loc	1 0 21 is_stmt 0                ; attention_bwd.py:0:21
	s_delay_alu instid0(VALU_DEP_1) | instskip(NEXT) | instid1(VALU_DEP_1)
	.loc	1 41 49 is_stmt 1               ; attention_bwd.py:41:49 @[ attention_bwd.py:200:26 ]
	v_add_co_u32 v5, vcc_lo, v3, v116
	v_add_co_ci_u32_e64 v6, null, v4, v117, vcc_lo
	.loc	1 48 21                         ; attention_bwd.py:48:21 @[ attention_bwd.py:200:26 ]
	global_load_u16 v45, v[5:6], off
.Ltmp34:
.LBB0_28:
	.loc	1 0 21 is_stmt 0                ; attention_bwd.py:0:21
	s_load_b64 s[10:11], s[0:1], 0x20
	.loc	1 171 69 is_stmt 1              ; attention_bwd.py:171:69
	s_mul_i32 s93, s55, 56
	s_delay_alu instid0(SALU_CYCLE_1) | instskip(SKIP_2) | instid1(VALU_DEP_2)
	v_dual_mov_b32 v48, 0 :: v_dual_add_nc_u32 v5, s93, v1
	v_mov_b32_e32 v47, 0
.Ltmp35:
	.loc	1 48 21                         ; attention_bwd.py:48:21 @[ attention_bwd.py:200:26 ]
	s_and_b32 vcc_lo, exec_lo, s2
	.loc	1 41 49                         ; attention_bwd.py:41:49 @[ attention_bwd.py:200:26 ]
	v_ashrrev_i32_e32 v6, 31, v5
	s_delay_alu instid0(VALU_DEP_1)
	v_lshlrev_b64 v[118:119], 1, v[5:6]
	.loc	1 48 21                         ; attention_bwd.py:48:21 @[ attention_bwd.py:200:26 ]
	s_cbranch_vccnz .LBB0_30
; %bb.29:
	.loc	1 0 21 is_stmt 0                ; attention_bwd.py:0:21
	s_delay_alu instid0(VALU_DEP_1) | instskip(NEXT) | instid1(VALU_DEP_1)
	.loc	1 41 49 is_stmt 1               ; attention_bwd.py:41:49 @[ attention_bwd.py:200:26 ]
	v_add_co_u32 v5, vcc_lo, v3, v118
	v_add_co_ci_u32_e64 v6, null, v4, v119, vcc_lo
	.loc	1 48 21                         ; attention_bwd.py:48:21 @[ attention_bwd.py:200:26 ]
	global_load_u16 v48, v[5:6], off
.Ltmp36:
.LBB0_30:
	.loc	1 171 69                        ; attention_bwd.py:171:69
	s_mul_i32 s94, s55, 60
.Ltmp37:
	.loc	1 48 21                         ; attention_bwd.py:48:21 @[ attention_bwd.py:200:26 ]
	s_and_b32 vcc_lo, exec_lo, s2
	.loc	1 41 67                         ; attention_bwd.py:41:67 @[ attention_bwd.py:200:26 ]
	v_add_nc_u32_e32 v1, s94, v1
	s_delay_alu instid0(VALU_DEP_1) | instskip(NEXT) | instid1(VALU_DEP_1)
	.loc	1 41 49 is_stmt 0               ; attention_bwd.py:41:49 @[ attention_bwd.py:200:26 ]
	v_ashrrev_i32_e32 v2, 31, v1
	v_lshlrev_b64 v[120:121], 1, v[1:2]
	.loc	1 48 21 is_stmt 1               ; attention_bwd.py:48:21 @[ attention_bwd.py:200:26 ]
	s_cbranch_vccnz .LBB0_32
; %bb.31:
	.loc	1 0 21 is_stmt 0                ; attention_bwd.py:0:21
	s_delay_alu instid0(VALU_DEP_1) | instskip(NEXT) | instid1(VALU_DEP_1)
	.loc	1 41 49 is_stmt 1               ; attention_bwd.py:41:49 @[ attention_bwd.py:200:26 ]
	v_add_co_u32 v1, vcc_lo, v3, v120
	v_add_co_ci_u32_e64 v2, null, v4, v121, vcc_lo
	.loc	1 48 21                         ; attention_bwd.py:48:21 @[ attention_bwd.py:200:26 ]
	global_load_u16 v47, v[1:2], off
.LBB0_32:
	.loc	1 42 37                         ; attention_bwd.py:42:37 @[ attention_bwd.py:200:26 ]
	scratch_load_b32 v0, off, off           ; 4-byte Folded Reload
.Ltmp38:
	.loc	1 151 10                        ; attention_bwd.py:151:10
	s_waitcnt lgkmcnt(0)
	s_add_u32 s78, s10, s52
	s_addc_u32 s79, s11, s53
.Ltmp39:
	.loc	1 58 21                         ; attention_bwd.py:58:21 @[ attention_bwd.py:200:26 ]
	s_and_b32 vcc_lo, exec_lo, s2
	v_mov_b32_e32 v49, 0
	.loc	1 42 37                         ; attention_bwd.py:42:37 @[ attention_bwd.py:200:26 ]
	s_waitcnt vmcnt(0)
	v_mul_lo_u32 v31, s54, v0
	v_mov_b32_e32 v0, 0
	s_delay_alu instid0(VALU_DEP_2) | instskip(NEXT) | instid1(VALU_DEP_1)
	.loc	1 42 19 is_stmt 0               ; attention_bwd.py:42:19 @[ attention_bwd.py:200:26 ]
	v_ashrrev_i32_e32 v32, 31, v31
	v_lshlrev_b64 v[1:2], 1, v[31:32]
	.loc	1 58 21 is_stmt 1               ; attention_bwd.py:58:21 @[ attention_bwd.py:200:26 ]
	s_cbranch_vccnz .LBB0_34
; %bb.33:
	.loc	1 0 21 is_stmt 0                ; attention_bwd.py:0:21
	s_delay_alu instid0(VALU_DEP_1) | instskip(NEXT) | instid1(VALU_DEP_1)
	.loc	1 42 19 is_stmt 1               ; attention_bwd.py:42:19 @[ attention_bwd.py:200:26 ]
	v_add_co_u32 v3, vcc_lo, s78, v1
	v_add_co_ci_u32_e64 v4, null, s79, v2, vcc_lo
	s_delay_alu instid0(VALU_DEP_2) | instskip(NEXT) | instid1(VALU_DEP_1)
	.loc	1 42 50 is_stmt 0               ; attention_bwd.py:42:50 @[ attention_bwd.py:200:26 ]
	v_add_co_u32 v3, vcc_lo, v3, v251
	v_add_co_ci_u32_e64 v4, null, v4, v252, vcc_lo
	.loc	1 58 21 is_stmt 1               ; attention_bwd.py:58:21 @[ attention_bwd.py:200:26 ]
	global_load_u16 v49, v[3:4], off
.LBB0_34:
	.loc	1 42 37                         ; attention_bwd.py:42:37 @[ attention_bwd.py:200:26 ]
	v_lshl_add_u32 v3, s54, 1, v31
	.loc	1 58 21                         ; attention_bwd.py:58:21 @[ attention_bwd.py:200:26 ]
	s_and_b32 vcc_lo, exec_lo, s2
	s_delay_alu instid0(VALU_DEP_1) | instskip(NEXT) | instid1(VALU_DEP_1)
	.loc	1 42 19                         ; attention_bwd.py:42:19 @[ attention_bwd.py:200:26 ]
	v_ashrrev_i32_e32 v4, 31, v3
	v_lshlrev_b64 v[3:4], 1, v[3:4]
	.loc	1 58 21                         ; attention_bwd.py:58:21 @[ attention_bwd.py:200:26 ]
	s_cbranch_vccnz .LBB0_36
; %bb.35:
	.loc	1 0 21 is_stmt 0                ; attention_bwd.py:0:21
	s_delay_alu instid0(VALU_DEP_1) | instskip(NEXT) | instid1(VALU_DEP_1)
	.loc	1 42 19 is_stmt 1               ; attention_bwd.py:42:19 @[ attention_bwd.py:200:26 ]
	v_add_co_u32 v0, vcc_lo, s78, v3
	v_add_co_ci_u32_e64 v6, null, s79, v4, vcc_lo
	s_delay_alu instid0(VALU_DEP_2) | instskip(NEXT) | instid1(VALU_DEP_1)
	.loc	1 42 50 is_stmt 0               ; attention_bwd.py:42:50 @[ attention_bwd.py:200:26 ]
	v_add_co_u32 v5, vcc_lo, v0, v251
	v_add_co_ci_u32_e64 v6, null, v6, v252, vcc_lo
	.loc	1 58 21 is_stmt 1               ; attention_bwd.py:58:21 @[ attention_bwd.py:200:26 ]
	global_load_u16 v0, v[5:6], off
.LBB0_36:
	.loc	1 42 37                         ; attention_bwd.py:42:37 @[ attention_bwd.py:200:26 ]
	v_lshl_add_u32 v5, s54, 2, v31
	v_dual_mov_b32 v50, 0 :: v_dual_mov_b32 v51, 0
	.loc	1 58 21                         ; attention_bwd.py:58:21 @[ attention_bwd.py:200:26 ]
	s_and_b32 vcc_lo, exec_lo, s2
	s_delay_alu instid0(VALU_DEP_2) | instskip(NEXT) | instid1(VALU_DEP_1)
	.loc	1 42 19                         ; attention_bwd.py:42:19 @[ attention_bwd.py:200:26 ]
	v_ashrrev_i32_e32 v6, 31, v5
	v_lshlrev_b64 v[5:6], 1, v[5:6]
	.loc	1 58 21                         ; attention_bwd.py:58:21 @[ attention_bwd.py:200:26 ]
	s_cbranch_vccnz .LBB0_38
; %bb.37:
	.loc	1 0 21 is_stmt 0                ; attention_bwd.py:0:21
	s_delay_alu instid0(VALU_DEP_1) | instskip(NEXT) | instid1(VALU_DEP_1)
	.loc	1 42 19 is_stmt 1               ; attention_bwd.py:42:19 @[ attention_bwd.py:200:26 ]
	v_add_co_u32 v7, vcc_lo, s78, v5
	v_add_co_ci_u32_e64 v8, null, s79, v6, vcc_lo
	s_delay_alu instid0(VALU_DEP_2) | instskip(NEXT) | instid1(VALU_DEP_1)
	.loc	1 42 50 is_stmt 0               ; attention_bwd.py:42:50 @[ attention_bwd.py:200:26 ]
	v_add_co_u32 v7, vcc_lo, v7, v251
	v_add_co_ci_u32_e64 v8, null, v8, v252, vcc_lo
	.loc	1 58 21 is_stmt 1               ; attention_bwd.py:58:21 @[ attention_bwd.py:200:26 ]
	global_load_u16 v51, v[7:8], off
.LBB0_38:
	.loc	1 42 37                         ; attention_bwd.py:42:37 @[ attention_bwd.py:200:26 ]
	v_mad_u64_u32 v[7:8], null, s54, 6, v[31:32]
	.loc	1 58 21                         ; attention_bwd.py:58:21 @[ attention_bwd.py:200:26 ]
	s_and_b32 vcc_lo, exec_lo, s2
	.loc	1 42 19                         ; attention_bwd.py:42:19 @[ attention_bwd.py:200:26 ]
	v_ashrrev_i32_e32 v8, 31, v7
	s_delay_alu instid0(VALU_DEP_1)
	v_lshlrev_b64 v[7:8], 1, v[7:8]
	.loc	1 58 21                         ; attention_bwd.py:58:21 @[ attention_bwd.py:200:26 ]
	s_cbranch_vccnz .LBB0_40
; %bb.39:
	.loc	1 0 21 is_stmt 0                ; attention_bwd.py:0:21
	s_delay_alu instid0(VALU_DEP_1) | instskip(NEXT) | instid1(VALU_DEP_1)
	.loc	1 42 19 is_stmt 1               ; attention_bwd.py:42:19 @[ attention_bwd.py:200:26 ]
	v_add_co_u32 v9, vcc_lo, s78, v7
	v_add_co_ci_u32_e64 v10, null, s79, v8, vcc_lo
	s_delay_alu instid0(VALU_DEP_2) | instskip(NEXT) | instid1(VALU_DEP_1)
	.loc	1 42 50 is_stmt 0               ; attention_bwd.py:42:50 @[ attention_bwd.py:200:26 ]
	v_add_co_u32 v9, vcc_lo, v9, v251
	v_add_co_ci_u32_e64 v10, null, v10, v252, vcc_lo
	.loc	1 58 21 is_stmt 1               ; attention_bwd.py:58:21 @[ attention_bwd.py:200:26 ]
	global_load_u16 v50, v[9:10], off
.LBB0_40:
	.loc	1 42 37                         ; attention_bwd.py:42:37 @[ attention_bwd.py:200:26 ]
	v_lshl_add_u32 v9, s54, 3, v31
	v_dual_mov_b32 v52, 0 :: v_dual_mov_b32 v53, 0
	.loc	1 58 21                         ; attention_bwd.py:58:21 @[ attention_bwd.py:200:26 ]
	s_and_b32 vcc_lo, exec_lo, s2
	s_delay_alu instid0(VALU_DEP_2) | instskip(NEXT) | instid1(VALU_DEP_1)
	.loc	1 42 19                         ; attention_bwd.py:42:19 @[ attention_bwd.py:200:26 ]
	v_ashrrev_i32_e32 v10, 31, v9
	v_lshlrev_b64 v[9:10], 1, v[9:10]
	.loc	1 58 21                         ; attention_bwd.py:58:21 @[ attention_bwd.py:200:26 ]
	s_cbranch_vccnz .LBB0_42
; %bb.41:
	.loc	1 0 21 is_stmt 0                ; attention_bwd.py:0:21
	s_delay_alu instid0(VALU_DEP_1) | instskip(NEXT) | instid1(VALU_DEP_1)
	.loc	1 42 19 is_stmt 1               ; attention_bwd.py:42:19 @[ attention_bwd.py:200:26 ]
	v_add_co_u32 v11, vcc_lo, s78, v9
	v_add_co_ci_u32_e64 v12, null, s79, v10, vcc_lo
	s_delay_alu instid0(VALU_DEP_2) | instskip(NEXT) | instid1(VALU_DEP_1)
	.loc	1 42 50 is_stmt 0               ; attention_bwd.py:42:50 @[ attention_bwd.py:200:26 ]
	v_add_co_u32 v11, vcc_lo, v11, v251
	v_add_co_ci_u32_e64 v12, null, v12, v252, vcc_lo
	.loc	1 58 21 is_stmt 1               ; attention_bwd.py:58:21 @[ attention_bwd.py:200:26 ]
	global_load_u16 v53, v[11:12], off
.LBB0_42:
	.loc	1 42 37                         ; attention_bwd.py:42:37 @[ attention_bwd.py:200:26 ]
	v_mad_u64_u32 v[11:12], null, s54, 10, v[31:32]
	.loc	1 58 21                         ; attention_bwd.py:58:21 @[ attention_bwd.py:200:26 ]
	s_and_b32 vcc_lo, exec_lo, s2
	.loc	1 42 19                         ; attention_bwd.py:42:19 @[ attention_bwd.py:200:26 ]
	v_ashrrev_i32_e32 v12, 31, v11
	s_delay_alu instid0(VALU_DEP_1)
	v_lshlrev_b64 v[11:12], 1, v[11:12]
	.loc	1 58 21                         ; attention_bwd.py:58:21 @[ attention_bwd.py:200:26 ]
	s_cbranch_vccnz .LBB0_44
; %bb.43:
	.loc	1 0 21 is_stmt 0                ; attention_bwd.py:0:21
	s_delay_alu instid0(VALU_DEP_1) | instskip(NEXT) | instid1(VALU_DEP_1)
	.loc	1 42 19 is_stmt 1               ; attention_bwd.py:42:19 @[ attention_bwd.py:200:26 ]
	v_add_co_u32 v13, vcc_lo, s78, v11
	v_add_co_ci_u32_e64 v14, null, s79, v12, vcc_lo
	s_delay_alu instid0(VALU_DEP_2) | instskip(NEXT) | instid1(VALU_DEP_1)
	.loc	1 42 50 is_stmt 0               ; attention_bwd.py:42:50 @[ attention_bwd.py:200:26 ]
	v_add_co_u32 v13, vcc_lo, v13, v251
	v_add_co_ci_u32_e64 v14, null, v14, v252, vcc_lo
	.loc	1 58 21 is_stmt 1               ; attention_bwd.py:58:21 @[ attention_bwd.py:200:26 ]
	global_load_u16 v52, v[13:14], off
.LBB0_44:
	.loc	1 42 37                         ; attention_bwd.py:42:37 @[ attention_bwd.py:200:26 ]
	v_mad_u64_u32 v[13:14], null, s54, 12, v[31:32]
	v_dual_mov_b32 v54, 0 :: v_dual_mov_b32 v55, 0
	.loc	1 58 21                         ; attention_bwd.py:58:21 @[ attention_bwd.py:200:26 ]
	s_and_b32 vcc_lo, exec_lo, s2
	s_delay_alu instid0(VALU_DEP_2) | instskip(NEXT) | instid1(VALU_DEP_1)
	.loc	1 42 19                         ; attention_bwd.py:42:19 @[ attention_bwd.py:200:26 ]
	v_ashrrev_i32_e32 v14, 31, v13
	v_lshlrev_b64 v[13:14], 1, v[13:14]
	.loc	1 58 21                         ; attention_bwd.py:58:21 @[ attention_bwd.py:200:26 ]
	s_cbranch_vccnz .LBB0_46
; %bb.45:
	.loc	1 0 21 is_stmt 0                ; attention_bwd.py:0:21
	s_delay_alu instid0(VALU_DEP_1) | instskip(NEXT) | instid1(VALU_DEP_1)
	.loc	1 42 19 is_stmt 1               ; attention_bwd.py:42:19 @[ attention_bwd.py:200:26 ]
	v_add_co_u32 v15, vcc_lo, s78, v13
	v_add_co_ci_u32_e64 v16, null, s79, v14, vcc_lo
	s_delay_alu instid0(VALU_DEP_2) | instskip(NEXT) | instid1(VALU_DEP_1)
	.loc	1 42 50 is_stmt 0               ; attention_bwd.py:42:50 @[ attention_bwd.py:200:26 ]
	v_add_co_u32 v15, vcc_lo, v15, v251
	v_add_co_ci_u32_e64 v16, null, v16, v252, vcc_lo
	.loc	1 58 21 is_stmt 1               ; attention_bwd.py:58:21 @[ attention_bwd.py:200:26 ]
	global_load_u16 v55, v[15:16], off
.LBB0_46:
	.loc	1 42 37                         ; attention_bwd.py:42:37 @[ attention_bwd.py:200:26 ]
	v_mad_u64_u32 v[15:16], null, s54, 14, v[31:32]
	.loc	1 58 21                         ; attention_bwd.py:58:21 @[ attention_bwd.py:200:26 ]
	s_and_b32 vcc_lo, exec_lo, s2
	.loc	1 42 19                         ; attention_bwd.py:42:19 @[ attention_bwd.py:200:26 ]
	v_ashrrev_i32_e32 v16, 31, v15
	s_delay_alu instid0(VALU_DEP_1)
	v_lshlrev_b64 v[15:16], 1, v[15:16]
	.loc	1 58 21                         ; attention_bwd.py:58:21 @[ attention_bwd.py:200:26 ]
	s_cbranch_vccnz .LBB0_48
; %bb.47:
	.loc	1 0 21 is_stmt 0                ; attention_bwd.py:0:21
	s_delay_alu instid0(VALU_DEP_1) | instskip(NEXT) | instid1(VALU_DEP_1)
	.loc	1 42 19 is_stmt 1               ; attention_bwd.py:42:19 @[ attention_bwd.py:200:26 ]
	v_add_co_u32 v17, vcc_lo, s78, v15
	v_add_co_ci_u32_e64 v18, null, s79, v16, vcc_lo
	s_delay_alu instid0(VALU_DEP_2) | instskip(NEXT) | instid1(VALU_DEP_1)
	.loc	1 42 50 is_stmt 0               ; attention_bwd.py:42:50 @[ attention_bwd.py:200:26 ]
	v_add_co_u32 v17, vcc_lo, v17, v251
	v_add_co_ci_u32_e64 v18, null, v18, v252, vcc_lo
	.loc	1 58 21 is_stmt 1               ; attention_bwd.py:58:21 @[ attention_bwd.py:200:26 ]
	global_load_u16 v54, v[17:18], off
.LBB0_48:
	.loc	1 42 37                         ; attention_bwd.py:42:37 @[ attention_bwd.py:200:26 ]
	v_lshl_add_u32 v17, s54, 4, v31
	v_dual_mov_b32 v56, 0 :: v_dual_mov_b32 v57, 0
	.loc	1 58 21                         ; attention_bwd.py:58:21 @[ attention_bwd.py:200:26 ]
	s_and_b32 vcc_lo, exec_lo, s2
	s_delay_alu instid0(VALU_DEP_2) | instskip(NEXT) | instid1(VALU_DEP_1)
	.loc	1 42 19                         ; attention_bwd.py:42:19 @[ attention_bwd.py:200:26 ]
	v_ashrrev_i32_e32 v18, 31, v17
	v_lshlrev_b64 v[17:18], 1, v[17:18]
	.loc	1 58 21                         ; attention_bwd.py:58:21 @[ attention_bwd.py:200:26 ]
	s_cbranch_vccnz .LBB0_50
; %bb.49:
	.loc	1 0 21 is_stmt 0                ; attention_bwd.py:0:21
	s_delay_alu instid0(VALU_DEP_1) | instskip(NEXT) | instid1(VALU_DEP_1)
	.loc	1 42 19 is_stmt 1               ; attention_bwd.py:42:19 @[ attention_bwd.py:200:26 ]
	v_add_co_u32 v19, vcc_lo, s78, v17
	v_add_co_ci_u32_e64 v20, null, s79, v18, vcc_lo
	s_delay_alu instid0(VALU_DEP_2) | instskip(NEXT) | instid1(VALU_DEP_1)
	.loc	1 42 50 is_stmt 0               ; attention_bwd.py:42:50 @[ attention_bwd.py:200:26 ]
	v_add_co_u32 v19, vcc_lo, v19, v251
	v_add_co_ci_u32_e64 v20, null, v20, v252, vcc_lo
	.loc	1 58 21 is_stmt 1               ; attention_bwd.py:58:21 @[ attention_bwd.py:200:26 ]
	global_load_u16 v57, v[19:20], off
.LBB0_50:
	.loc	1 42 37                         ; attention_bwd.py:42:37 @[ attention_bwd.py:200:26 ]
	v_mad_u64_u32 v[19:20], null, s54, 18, v[31:32]
	.loc	1 58 21                         ; attention_bwd.py:58:21 @[ attention_bwd.py:200:26 ]
	s_and_b32 vcc_lo, exec_lo, s2
	.loc	1 42 19                         ; attention_bwd.py:42:19 @[ attention_bwd.py:200:26 ]
	v_ashrrev_i32_e32 v20, 31, v19
	s_delay_alu instid0(VALU_DEP_1)
	v_lshlrev_b64 v[19:20], 1, v[19:20]
	.loc	1 58 21                         ; attention_bwd.py:58:21 @[ attention_bwd.py:200:26 ]
	s_cbranch_vccnz .LBB0_52
; %bb.51:
	.loc	1 0 21 is_stmt 0                ; attention_bwd.py:0:21
	s_delay_alu instid0(VALU_DEP_1) | instskip(NEXT) | instid1(VALU_DEP_1)
	.loc	1 42 19 is_stmt 1               ; attention_bwd.py:42:19 @[ attention_bwd.py:200:26 ]
	v_add_co_u32 v21, vcc_lo, s78, v19
	v_add_co_ci_u32_e64 v22, null, s79, v20, vcc_lo
	s_delay_alu instid0(VALU_DEP_2) | instskip(NEXT) | instid1(VALU_DEP_1)
	.loc	1 42 50 is_stmt 0               ; attention_bwd.py:42:50 @[ attention_bwd.py:200:26 ]
	v_add_co_u32 v21, vcc_lo, v21, v251
	v_add_co_ci_u32_e64 v22, null, v22, v252, vcc_lo
	.loc	1 58 21 is_stmt 1               ; attention_bwd.py:58:21 @[ attention_bwd.py:200:26 ]
	global_load_u16 v56, v[21:22], off
.LBB0_52:
	.loc	1 42 37                         ; attention_bwd.py:42:37 @[ attention_bwd.py:200:26 ]
	v_mad_u64_u32 v[21:22], null, s54, 20, v[31:32]
	v_dual_mov_b32 v58, 0 :: v_dual_mov_b32 v59, 0
	.loc	1 58 21                         ; attention_bwd.py:58:21 @[ attention_bwd.py:200:26 ]
	s_and_b32 vcc_lo, exec_lo, s2
	s_delay_alu instid0(VALU_DEP_2) | instskip(NEXT) | instid1(VALU_DEP_1)
	.loc	1 42 19                         ; attention_bwd.py:42:19 @[ attention_bwd.py:200:26 ]
	v_ashrrev_i32_e32 v22, 31, v21
	v_lshlrev_b64 v[21:22], 1, v[21:22]
	.loc	1 58 21                         ; attention_bwd.py:58:21 @[ attention_bwd.py:200:26 ]
	s_cbranch_vccnz .LBB0_54
; %bb.53:
	.loc	1 0 21 is_stmt 0                ; attention_bwd.py:0:21
	s_delay_alu instid0(VALU_DEP_1) | instskip(NEXT) | instid1(VALU_DEP_1)
	.loc	1 42 19 is_stmt 1               ; attention_bwd.py:42:19 @[ attention_bwd.py:200:26 ]
	v_add_co_u32 v23, vcc_lo, s78, v21
	v_add_co_ci_u32_e64 v24, null, s79, v22, vcc_lo
	s_delay_alu instid0(VALU_DEP_2) | instskip(NEXT) | instid1(VALU_DEP_1)
	.loc	1 42 50 is_stmt 0               ; attention_bwd.py:42:50 @[ attention_bwd.py:200:26 ]
	v_add_co_u32 v23, vcc_lo, v23, v251
	v_add_co_ci_u32_e64 v24, null, v24, v252, vcc_lo
	.loc	1 58 21 is_stmt 1               ; attention_bwd.py:58:21 @[ attention_bwd.py:200:26 ]
	global_load_u16 v59, v[23:24], off
.LBB0_54:
	.loc	1 42 37                         ; attention_bwd.py:42:37 @[ attention_bwd.py:200:26 ]
	v_mad_u64_u32 v[23:24], null, s54, 22, v[31:32]
	.loc	1 58 21                         ; attention_bwd.py:58:21 @[ attention_bwd.py:200:26 ]
	s_and_b32 vcc_lo, exec_lo, s2
	.loc	1 42 19                         ; attention_bwd.py:42:19 @[ attention_bwd.py:200:26 ]
	v_ashrrev_i32_e32 v24, 31, v23
	s_delay_alu instid0(VALU_DEP_1)
	v_lshlrev_b64 v[23:24], 1, v[23:24]
	.loc	1 58 21                         ; attention_bwd.py:58:21 @[ attention_bwd.py:200:26 ]
	s_cbranch_vccnz .LBB0_56
; %bb.55:
	.loc	1 0 21 is_stmt 0                ; attention_bwd.py:0:21
	s_delay_alu instid0(VALU_DEP_1) | instskip(NEXT) | instid1(VALU_DEP_1)
	.loc	1 42 19 is_stmt 1               ; attention_bwd.py:42:19 @[ attention_bwd.py:200:26 ]
	v_add_co_u32 v25, vcc_lo, s78, v23
	v_add_co_ci_u32_e64 v26, null, s79, v24, vcc_lo
	s_delay_alu instid0(VALU_DEP_2) | instskip(NEXT) | instid1(VALU_DEP_1)
	.loc	1 42 50 is_stmt 0               ; attention_bwd.py:42:50 @[ attention_bwd.py:200:26 ]
	v_add_co_u32 v25, vcc_lo, v25, v251
	v_add_co_ci_u32_e64 v26, null, v26, v252, vcc_lo
	.loc	1 58 21 is_stmt 1               ; attention_bwd.py:58:21 @[ attention_bwd.py:200:26 ]
	global_load_u16 v58, v[25:26], off
.LBB0_56:
	.loc	1 42 37                         ; attention_bwd.py:42:37 @[ attention_bwd.py:200:26 ]
	v_mad_u64_u32 v[25:26], null, s54, 24, v[31:32]
	v_dual_mov_b32 v60, 0 :: v_dual_mov_b32 v61, 0
	.loc	1 58 21                         ; attention_bwd.py:58:21 @[ attention_bwd.py:200:26 ]
	s_and_b32 vcc_lo, exec_lo, s2
	s_delay_alu instid0(VALU_DEP_2) | instskip(NEXT) | instid1(VALU_DEP_1)
	.loc	1 42 19                         ; attention_bwd.py:42:19 @[ attention_bwd.py:200:26 ]
	v_ashrrev_i32_e32 v26, 31, v25
	v_lshlrev_b64 v[25:26], 1, v[25:26]
	.loc	1 58 21                         ; attention_bwd.py:58:21 @[ attention_bwd.py:200:26 ]
	s_cbranch_vccnz .LBB0_58
; %bb.57:
	.loc	1 0 21 is_stmt 0                ; attention_bwd.py:0:21
	s_delay_alu instid0(VALU_DEP_1) | instskip(NEXT) | instid1(VALU_DEP_1)
	.loc	1 42 19 is_stmt 1               ; attention_bwd.py:42:19 @[ attention_bwd.py:200:26 ]
	v_add_co_u32 v27, vcc_lo, s78, v25
	v_add_co_ci_u32_e64 v28, null, s79, v26, vcc_lo
	s_delay_alu instid0(VALU_DEP_2) | instskip(NEXT) | instid1(VALU_DEP_1)
	.loc	1 42 50 is_stmt 0               ; attention_bwd.py:42:50 @[ attention_bwd.py:200:26 ]
	v_add_co_u32 v27, vcc_lo, v27, v251
	v_add_co_ci_u32_e64 v28, null, v28, v252, vcc_lo
	.loc	1 58 21 is_stmt 1               ; attention_bwd.py:58:21 @[ attention_bwd.py:200:26 ]
	global_load_u16 v61, v[27:28], off
.LBB0_58:
	.loc	1 42 37                         ; attention_bwd.py:42:37 @[ attention_bwd.py:200:26 ]
	v_mad_u64_u32 v[27:28], null, s54, 26, v[31:32]
	.loc	1 58 21                         ; attention_bwd.py:58:21 @[ attention_bwd.py:200:26 ]
	s_and_b32 vcc_lo, exec_lo, s2
	.loc	1 42 19                         ; attention_bwd.py:42:19 @[ attention_bwd.py:200:26 ]
	v_ashrrev_i32_e32 v28, 31, v27
	s_delay_alu instid0(VALU_DEP_1)
	v_lshlrev_b64 v[27:28], 1, v[27:28]
	.loc	1 58 21                         ; attention_bwd.py:58:21 @[ attention_bwd.py:200:26 ]
	s_cbranch_vccnz .LBB0_60
; %bb.59:
	.loc	1 0 21 is_stmt 0                ; attention_bwd.py:0:21
	s_delay_alu instid0(VALU_DEP_1) | instskip(NEXT) | instid1(VALU_DEP_1)
	.loc	1 42 19 is_stmt 1               ; attention_bwd.py:42:19 @[ attention_bwd.py:200:26 ]
	v_add_co_u32 v29, vcc_lo, s78, v27
	v_add_co_ci_u32_e64 v30, null, s79, v28, vcc_lo
	s_delay_alu instid0(VALU_DEP_2) | instskip(NEXT) | instid1(VALU_DEP_1)
	.loc	1 42 50 is_stmt 0               ; attention_bwd.py:42:50 @[ attention_bwd.py:200:26 ]
	v_add_co_u32 v29, vcc_lo, v29, v251
	v_add_co_ci_u32_e64 v30, null, v30, v252, vcc_lo
	.loc	1 58 21 is_stmt 1               ; attention_bwd.py:58:21 @[ attention_bwd.py:200:26 ]
	global_load_u16 v60, v[29:30], off
.LBB0_60:
	.loc	1 0 21 is_stmt 0                ; attention_bwd.py:0:21
	s_load_b128 s[4:7], s[0:1], 0x40
	.loc	1 42 37 is_stmt 1               ; attention_bwd.py:42:37 @[ attention_bwd.py:200:26 ]
	v_mad_u64_u32 v[29:30], null, s54, 28, v[31:32]
	v_dual_mov_b32 v62, 0 :: v_dual_mov_b32 v63, 0
	.loc	1 58 21                         ; attention_bwd.py:58:21 @[ attention_bwd.py:200:26 ]
	s_and_b32 vcc_lo, exec_lo, s2
	s_delay_alu instid0(VALU_DEP_2) | instskip(NEXT) | instid1(VALU_DEP_1)
	.loc	1 42 19                         ; attention_bwd.py:42:19 @[ attention_bwd.py:200:26 ]
	v_ashrrev_i32_e32 v30, 31, v29
	v_lshlrev_b64 v[29:30], 1, v[29:30]
	.loc	1 58 21                         ; attention_bwd.py:58:21 @[ attention_bwd.py:200:26 ]
	s_cbranch_vccnz .LBB0_62
; %bb.61:
	.loc	1 0 21 is_stmt 0                ; attention_bwd.py:0:21
	s_delay_alu instid0(VALU_DEP_1) | instskip(NEXT) | instid1(VALU_DEP_1)
	.loc	1 42 19 is_stmt 1               ; attention_bwd.py:42:19 @[ attention_bwd.py:200:26 ]
	v_add_co_u32 v32, vcc_lo, s78, v29
	v_add_co_ci_u32_e64 v64, null, s79, v30, vcc_lo
	s_delay_alu instid0(VALU_DEP_2) | instskip(NEXT) | instid1(VALU_DEP_1)
	.loc	1 42 50 is_stmt 0               ; attention_bwd.py:42:50 @[ attention_bwd.py:200:26 ]
	v_add_co_u32 v63, vcc_lo, v32, v251
	v_add_co_ci_u32_e64 v64, null, v64, v252, vcc_lo
	.loc	1 58 21 is_stmt 1               ; attention_bwd.py:58:21 @[ attention_bwd.py:200:26 ]
	global_load_u16 v63, v[63:64], off
.LBB0_62:
	.loc	1 42 37                         ; attention_bwd.py:42:37 @[ attention_bwd.py:200:26 ]
	v_mad_u64_u32 v[64:65], null, s54, 30, v[31:32]
	.loc	1 58 21                         ; attention_bwd.py:58:21 @[ attention_bwd.py:200:26 ]
	s_and_b32 vcc_lo, exec_lo, s2
	s_clause 0xb                            ; 192-byte Folded Spill
	scratch_store_b128 off, v[165:168], off offset:728
	scratch_store_b128 off, v[169:172], off offset:744
	;; [unrolled: 1-line block ×12, first 2 shown]
	.loc	1 42 19                         ; attention_bwd.py:42:19 @[ attention_bwd.py:200:26 ]
	v_ashrrev_i32_e32 v65, 31, v64
	s_delay_alu instid0(VALU_DEP_1)
	v_lshlrev_b64 v[31:32], 1, v[64:65]
	.loc	1 58 21                         ; attention_bwd.py:58:21 @[ attention_bwd.py:200:26 ]
	s_cbranch_vccnz .LBB0_64
; %bb.63:
	.loc	1 0 21 is_stmt 0                ; attention_bwd.py:0:21
	s_delay_alu instid0(VALU_DEP_1) | instskip(NEXT) | instid1(VALU_DEP_1)
	.loc	1 42 19 is_stmt 1               ; attention_bwd.py:42:19 @[ attention_bwd.py:200:26 ]
	v_add_co_u32 v62, vcc_lo, s78, v31
	v_add_co_ci_u32_e64 v65, null, s79, v32, vcc_lo
	s_delay_alu instid0(VALU_DEP_2) | instskip(NEXT) | instid1(VALU_DEP_1)
	.loc	1 42 50 is_stmt 0               ; attention_bwd.py:42:50 @[ attention_bwd.py:200:26 ]
	v_add_co_u32 v64, vcc_lo, v62, v251
	v_add_co_ci_u32_e64 v65, null, v65, v252, vcc_lo
	.loc	1 58 21 is_stmt 1               ; attention_bwd.py:58:21 @[ attention_bwd.py:200:26 ]
	global_load_u16 v62, v[64:65], off
.Ltmp40:
.LBB0_64:
	.loc	1 171 58                        ; attention_bwd.py:171:58
	v_bfe_u32 v64, v80, 4, 1
	.loc	1 143 22                        ; attention_bwd.py:143:22
	s_mul_i32 s12, s9, s15
	ds_load_b128 v[194:197], v99
	ds_load_b128 v[186:189], v99 offset:8192
	ds_load_b128 v[198:201], v124
	ds_load_b128 v[190:193], v124 offset:8192
	;; [unrolled: 2-line block ×4, first 2 shown]
	ds_load_b128 v[166:169], v101
	ds_load_b128 v[162:165], v100
	ds_load_b128 v[154:157], v100 offset:8192
	ds_load_b128 v[158:161], v101 offset:8192
	ds_load_b128 v[150:153], v98
	ds_load_b128 v[146:149], v97
	ds_load_b128 v[138:141], v97 offset:8192
	ds_load_b128 v[142:145], v98 offset:8192
	.loc	1 143 32 is_stmt 0              ; attention_bwd.py:143:32
	s_ashr_i32 s13, s12, 31
                                        ; implicit-def: $vgpr253
                                        ; implicit-def: $vgpr108
                                        ; implicit-def: $vgpr109
	s_delay_alu instid0(SALU_CYCLE_1)
	.loc	1 155 9 is_stmt 1               ; attention_bwd.py:155:9
	s_lshl_b64 s[12:13], s[12:13], 2
	.loc	1 171 58                        ; attention_bwd.py:171:58
	v_lshlrev_b32_e32 v209, 2, v64
	scratch_store_b32 off, v64, off offset:2508 ; 4-byte Folded Spill
	.loc	1 155 9                         ; attention_bwd.py:155:9
	s_waitcnt lgkmcnt(0)
	s_add_u32 s62, s4, s12
	s_addc_u32 s63, s5, s13
	.loc	1 156 9                         ; attention_bwd.py:156:9
	s_add_u32 s58, s6, s12
.Ltmp41:
	.loc	1 51 20                         ; attention_bwd.py:51:20 @[ attention_bwd.py:200:26 ]
	v_or_b32_e32 v72, 64, v209
	v_or_b32_e32 v64, 8, v209
	;; [unrolled: 1-line block ×9, first 2 shown]
	v_cndmask_b32_e64 v66, 0x80000000, v209, s3
	v_or_b32_e32 v69, 40, v209
	v_or_b32_e32 v70, 48, v209
	;; [unrolled: 1-line block ×3, first 2 shown]
	v_cndmask_b32_e64 v72, 0x80000000, v72, s3
	v_or_b32_e32 v77, 0x68, v209
	v_or_b32_e32 v78, 0x70, v209
	;; [unrolled: 1-line block ×3, first 2 shown]
	v_cndmask_b32_e64 v64, 0x80000000, v64, s3
	v_cndmask_b32_e64 v73, 0x80000000, v73, s3
	;; [unrolled: 1-line block ×4, first 2 shown]
.Ltmp42:
	.loc	1 156 9                         ; attention_bwd.py:156:9
	s_addc_u32 s59, s7, s13
.Ltmp43:
	.loc	1 51 20                         ; attention_bwd.py:51:20 @[ attention_bwd.py:200:26 ]
	s_and_b32 s5, s63, 0xffff
	s_mov_b32 s7, 0x31027000
	s_mov_b32 s6, 0x7ffffffe
	;; [unrolled: 1-line block ×3, first 2 shown]
	v_cndmask_b32_e64 v67, 0x80000000, v67, s3
	v_cndmask_b32_e64 v75, 0x80000000, v75, s3
	;; [unrolled: 1-line block ×7, first 2 shown]
	s_clause 0x7
	buffer_load_b32 v137, v66, s[4:7], 0 offen
	buffer_load_b32 v130, v64, s[4:7], 0 offen
	;; [unrolled: 1-line block ×8, first 2 shown]
	v_cndmask_b32_e64 v77, 0x80000000, v77, s3
	v_cndmask_b32_e64 v78, 0x80000000, v78, s3
	;; [unrolled: 1-line block ×3, first 2 shown]
	s_clause 0x7
	buffer_load_b32 v208, v72, s[4:7], 0 offen
	buffer_load_b32 v207, v73, s[4:7], 0 offen
	;; [unrolled: 1-line block ×8, first 2 shown]
	.loc	1 64 21                         ; attention_bwd.py:64:21 @[ attention_bwd.py:200:26 ]
	s_and_b32 s5, s59, 0xffff
	s_mov_b32 s4, s58
	s_clause 0x7
	buffer_load_b32 v254, v64, s[4:7], 0 offen
	buffer_load_b32 v250, v65, s[4:7], 0 offen
	;; [unrolled: 1-line block ×8, first 2 shown]
	.loc	1 48 21                         ; attention_bwd.py:48:21 @[ attention_bwd.py:200:26 ]
	v_lshlrev_b32_e32 v64, 1, v80
	s_mov_b32 s3, -1
	s_delay_alu instid0(VALU_DEP_1)
	v_add_nc_u32_e32 v255, 0, v64
	.loc	1 64 21                         ; attention_bwd.py:64:21 @[ attention_bwd.py:200:26 ]
	s_waitcnt vmcnt(0)
	scratch_store_b32 off, v66, off offset:1860 ; 4-byte Folded Spill
	s_clause 0x7
	buffer_load_b32 v72, v72, s[4:7], 0 offen
	buffer_load_b32 v71, v73, s[4:7], 0 offen
	;; [unrolled: 1-line block ×8, first 2 shown]
.Ltmp44:
	.loc	1 191 37                        ; attention_bwd.py:191:37
	s_ashr_i32 s4, s9, 31
                                        ; implicit-def: $vgpr73
                                        ; implicit-def: $vgpr76
                                        ; implicit-def: $vgpr77
                                        ; implicit-def: $vgpr78
                                        ; implicit-def: $vgpr79
	s_delay_alu instid0(SALU_CYCLE_1) | instskip(NEXT) | instid1(SALU_CYCLE_1)
	s_lshr_b32 s4, s4, 27
	s_add_i32 s4, s9, s4
	s_delay_alu instid0(SALU_CYCLE_1) | instskip(SKIP_2) | instid1(SALU_CYCLE_1)
	s_ashr_i32 s77, s4, 5
.Ltmp45:
	.loc	1 47 25                         ; attention_bwd.py:47:25 @[ attention_bwd.py:200:26 ]
	s_cmp_gt_i32 s9, 63
	s_cselect_b32 s76, -1, 0
	s_and_b32 vcc_lo, exec_lo, s76
	.loc	1 48 21                         ; attention_bwd.py:48:21 @[ attention_bwd.py:200:26 ]
	s_waitcnt vmcnt(0)
	s_waitcnt_vscnt null, 0x0
	s_barrier
	buffer_gl0_inv
	ds_store_b16 v255, v34
	ds_store_b16 v255, v33 offset:256
	ds_store_b16 v255, v36 offset:512
	;; [unrolled: 1-line block ×15, first 2 shown]
	.loc	1 58 21                         ; attention_bwd.py:58:21 @[ attention_bwd.py:200:26 ]
	ds_store_b16 v255, v49 offset:4096
	ds_store_b16 v255, v0 offset:4352
	;; [unrolled: 1-line block ×10, first 2 shown]
	scratch_load_b32 v34, off, off offset:1732 ; 4-byte Folded Reload
                                        ; implicit-def: $vgpr33
                                        ; kill: killed $vgpr33
                                        ; implicit-def: $vgpr33
                                        ; kill: killed $vgpr33
	;; [unrolled: 2-line block ×94, first 2 shown]
                                        ; implicit-def: $vgpr33
	scratch_store_b32 off, v64, off offset:2504 ; 4-byte Folded Spill
                                        ; kill: killed $vgpr33
                                        ; implicit-def: $vgpr33
                                        ; kill: killed $vgpr33
                                        ; implicit-def: $vgpr33
                                        ; kill: killed $vgpr33
                                        ; implicit-def: $vgpr33
                                        ; kill: killed $vgpr33
                                        ; implicit-def: $vgpr33
                                        ; kill: killed $vgpr33
                                        ; implicit-def: $vgpr33
	ds_store_b16 v255, v59 offset:6656
	ds_store_b16 v255, v58 offset:6912
	;; [unrolled: 1-line block ×6, first 2 shown]
                                        ; implicit-def: $vgpr0
                                        ; implicit-def: $vgpr63
                                        ; implicit-def: $vgpr60
                                        ; implicit-def: $vgpr62
                                        ; implicit-def: $vgpr59
                                        ; implicit-def: $vgpr61
                                        ; implicit-def: $vgpr58
                                        ; implicit-def: $vgpr52
                                        ; implicit-def: $vgpr50
                                        ; implicit-def: $vgpr51
                                        ; implicit-def: $vgpr48
                                        ; implicit-def: $vgpr49
                                        ; implicit-def: $vgpr47
                                        ; implicit-def: $vgpr46
                                        ; implicit-def: $vgpr45
                                        ; implicit-def: $vgpr56
                                        ; implicit-def: $vgpr57
                                        ; implicit-def: $vgpr55
                                        ; implicit-def: $vgpr54
                                        ; implicit-def: $vgpr53
                                        ; kill: killed $vgpr33
                                        ; implicit-def: $vgpr33
                                        ; kill: killed $vgpr33
	s_waitcnt vmcnt(0)
	v_lshlrev_b32_e32 v74, 6, v34
	v_lshlrev_b32_e32 v64, 1, v34
	.loc	1 47 25                         ; attention_bwd.py:47:25 @[ attention_bwd.py:200:26 ]
	s_cbranch_vccnz .LBB0_66
; %bb.65:                               ; %.._crit_edge_crit_edge
	.loc	1 48 21                         ; attention_bwd.py:48:21 @[ attention_bwd.py:200:26 ]
	v_lshlrev_b32_e32 v73, 1, v34
	.loc	1 69 26                         ; attention_bwd.py:69:26 @[ attention_bwd.py:200:26 ]
	v_lshlrev_b32_e32 v0, 6, v34
	s_mov_b32 s3, 0
	s_delay_alu instid0(VALU_DEP_2)
	.loc	1 48 21                         ; attention_bwd.py:48:21 @[ attention_bwd.py:200:26 ]
	v_or_b32_e32 v33, 0x140, v73
	v_or_b32_e32 v76, 64, v73
	v_or_b32_e32 v77, 0x80, v73
	v_or_b32_e32 v78, 0xc0, v73
	v_or_b32_e32 v79, 0x100, v73
	scratch_store_b32 off, v33, off offset:1180 ; 4-byte Folded Spill
	v_or_b32_e32 v33, 0x180, v73
	v_or_b32_e32 v253, 0x400, v73
	v_or_b32_e32 v108, 0x480, v73
	v_or_b32_e32 v109, 0x500, v73
	v_or_b32_e32 v63, 0xa00, v73
	scratch_store_b32 off, v33, off offset:1184 ; 4-byte Folded Spill
	;; [unrolled: 6-line block ×6, first 2 shown]
	v_or_b32_e32 v33, 0x2c0, v73
	v_or_b32_e32 v54, 0x720, v73
	;; [unrolled: 1-line block ×3, first 2 shown]
	scratch_store_b32 off, v33, off offset:1200 ; 4-byte Folded Spill
	v_or_b32_e32 v33, 0x300, v73
	scratch_store_b32 off, v33, off offset:1208 ; 4-byte Folded Spill
	v_or_b32_e32 v33, 0x340, v73
	;; [unrolled: 2-line block ×94, first 2 shown]
	scratch_store_b32 off, v33, off offset:2636 ; 4-byte Folded Spill
.LBB0_66:                               ; %Flow1690
	.loc	1 0 21 is_stmt 0                ; attention_bwd.py:0:21
	s_clause 0x1
	s_load_b128 s[44:47], s[0:1], 0x28
	s_load_b64 s[64:65], s[0:1], 0x38
	s_clause 0x19                           ; 248-byte Folded Spill
	scratch_store_b32 off, v207, off offset:240
	scratch_store_b32 off, v206, off offset:1288
	;; [unrolled: 1-line block ×14, first 2 shown]
	scratch_store_b128 off, v[194:197], off offset:1700
	scratch_store_b128 off, v[198:201], off offset:1716
	scratch_store_b128 off, v[186:189], off offset:1668
	scratch_store_b128 off, v[190:193], off offset:1684
	scratch_store_b128 off, v[178:181], off offset:1636
	scratch_store_b128 off, v[182:185], off offset:1652
	scratch_store_b128 off, v[170:173], off offset:1604
	scratch_store_b128 off, v[174:177], off offset:1620
	scratch_store_b128 off, v[154:157], off offset:1540
	scratch_store_b128 off, v[158:161], off offset:1556
	scratch_store_b128 off, v[146:149], off offset:1508
	scratch_store_b128 off, v[150:153], off offset:1524
	v_dual_mov_b32 v185, 0 :: v_dual_and_b32 v34, 16, v80
	s_lshl_b32 s60, s54, 5
	s_and_not1_b32 vcc_lo, exec_lo, s3
	s_add_i32 s77, s77, -1
	s_clause 0x1e                           ; 240-byte Folded Spill
	scratch_store_b32 off, v80, off offset:1764
	scratch_store_b64 off, v[81:82], off offset:1952
	scratch_store_b64 off, v[83:84], off offset:1960
	;; [unrolled: 1-line block ×17, first 2 shown]
	scratch_store_b32 off, v97, off offset:2400
	scratch_store_b32 off, v98, off offset:2404
	;; [unrolled: 1-line block ×8, first 2 shown]
	scratch_store_b128 off, v[138:141], off offset:1476
	scratch_store_b128 off, v[142:145], off offset:1492
	;; [unrolled: 1-line block ×4, first 2 shown]
	scratch_store_b32 off, v34, off offset:1300
	s_cbranch_vccnz .LBB0_70
; %bb.67:                               ; %.lr.ph
	v_mov_b32_e32 v33, 0x7632
	v_cmp_eq_u32_e32 vcc_lo, 0, v34
	v_mov_b32_e32 v0, 0x5410
	s_ashr_i32 s61, s60, 31
	.loc	1 47 25 is_stmt 1               ; attention_bwd.py:47:25 @[ attention_bwd.py:200:26 ]
	s_max_i32 s95, s77, 1
	s_lshl_b64 s[66:67], s[60:61], 1
	v_cndmask_b32_e32 v33, 0x3276, v33, vcc_lo
	s_add_u32 s3, s10, s66
	s_addc_u32 s4, s11, s67
	s_mov_b32 s36, 0
	s_mov_b32 s61, 0x76543210
	v_lshl_or_b32 v33, v33, 8, v33
	s_mov_b32 s37, s36
	s_mov_b32 s38, s36
	;; [unrolled: 1-line block ×4, first 2 shown]
	v_and_b32_e32 v33, 0x760076, v33
	s_mov_b32 s41, s36
	s_mov_b32 s42, s36
	;; [unrolled: 1-line block ×3, first 2 shown]
	s_mov_b64 s[68:69], s[62:63]
	v_lshl_or_b32 v33, v33, 4, v33
	v_add_nc_u32_e32 v183, 0, v74
	v_add_nc_u32_e32 v253, 0, v64
	s_delay_alu instid0(VALU_DEP_3) | instskip(SKIP_2) | instid1(VALU_DEP_1)
	v_and_b32_e32 v101, 0x7060706, v33
	v_dual_mov_b32 v33, 0 :: v_dual_cndmask_b32 v0, 0x1054, v0
	v_add_co_u32 v31, vcc_lo, v31, v251
	v_add_co_ci_u32_e64 v32, null, v32, v252, vcc_lo
	s_delay_alu instid0(VALU_DEP_3) | instskip(NEXT) | instid1(VALU_DEP_4)
	v_mov_b32_e32 v35, v33
	v_lshl_or_b32 v0, v0, 8, v0
	v_mov_b32_e32 v37, v33
	v_mov_b32_e32 v38, v33
	;; [unrolled: 1-line block ×4, first 2 shown]
	v_dual_mov_b32 v39, v33 :: v_dual_and_b32 v0, 0x540054, v0
	v_add_nc_u32_e32 v181, v183, v74
	s_delay_alu instid0(VALU_DEP_2) | instskip(NEXT) | instid1(VALU_DEP_1)
	v_lshl_or_b32 v0, v0, 4, v0
	v_and_b32_e32 v100, 0x5040504, v0
	v_add_co_u32 v0, vcc_lo, v29, v251
	s_delay_alu instid0(VALU_DEP_1) | instskip(SKIP_1) | instid1(VALU_DEP_1)
	v_add_co_ci_u32_e64 v29, null, v30, v252, vcc_lo
	v_add_co_u32 v75, vcc_lo, s3, v31
	v_add_co_ci_u32_e64 v76, null, s4, v32, vcc_lo
	s_delay_alu instid0(VALU_DEP_4) | instskip(NEXT) | instid1(VALU_DEP_1)
	v_add_co_u32 v77, vcc_lo, s3, v0
	v_add_co_ci_u32_e64 v78, null, s4, v29, vcc_lo
	v_add_co_u32 v0, vcc_lo, v27, v251
	s_delay_alu instid0(VALU_DEP_1) | instskip(SKIP_1) | instid1(VALU_DEP_1)
	v_add_co_ci_u32_e64 v27, null, v28, v252, vcc_lo
	v_add_co_u32 v25, vcc_lo, v25, v251
	v_add_co_ci_u32_e64 v26, null, v26, v252, vcc_lo
	s_delay_alu instid0(VALU_DEP_4) | instskip(NEXT) | instid1(VALU_DEP_1)
	v_add_co_u32 v79, vcc_lo, s3, v0
	v_add_co_ci_u32_e64 v80, null, s4, v27, vcc_lo
	s_delay_alu instid0(VALU_DEP_4) | instskip(NEXT) | instid1(VALU_DEP_1)
	v_add_co_u32 v122, vcc_lo, s3, v25
	v_add_co_ci_u32_e64 v123, null, s4, v26, vcc_lo
	v_add_co_u32 v0, vcc_lo, v23, v251
	s_delay_alu instid0(VALU_DEP_1) | instskip(SKIP_1) | instid1(VALU_DEP_1)
	v_add_co_ci_u32_e64 v23, null, v24, v252, vcc_lo
	v_add_co_u32 v21, vcc_lo, v21, v251
	v_add_co_ci_u32_e64 v22, null, v22, v252, vcc_lo
	s_delay_alu instid0(VALU_DEP_4) | instskip(NEXT) | instid1(VALU_DEP_1)
	v_add_co_u32 v124, vcc_lo, s3, v0
	v_add_co_ci_u32_e64 v0, null, s4, v23, vcc_lo
	v_mov_b32_e32 v23, v33
	v_mov_b32_e32 v24, v33
	v_mov_b32_e32 v25, v33
	scratch_store_b32 off, v0, off offset:856 ; 4-byte Folded Spill
	v_add_co_u32 v0, vcc_lo, s3, v21
	v_mov_b32_e32 v21, v33
	v_mov_b32_e32 v26, v33
	;; [unrolled: 1-line block ×3, first 2 shown]
	scratch_store_b32 off, v0, off offset:860 ; 4-byte Folded Spill
	v_add_co_ci_u32_e64 v0, null, s4, v22, vcc_lo
	v_mov_b32_e32 v22, v33
	v_mov_b32_e32 v28, v33
	s_clause 0x17                           ; 360-byte Folded Spill
	scratch_store_b128 off, v[21:24], off
	scratch_store_b128 off, v[25:28], off offset:16
	scratch_store_b32 off, v209, off offset:1120
	scratch_store_b128 off, v[21:24], off offset:32
	scratch_store_b128 off, v[25:28], off offset:48
	;; [unrolled: 1-line block ×20, first 2 shown]
	scratch_store_b32 off, v0, off offset:864
	v_add_co_u32 v0, vcc_lo, v19, v251
	s_delay_alu instid0(VALU_DEP_1) | instskip(SKIP_1) | instid1(VALU_DEP_1)
	v_add_co_ci_u32_e64 v19, null, v20, v252, vcc_lo
	v_add_co_u32 v17, vcc_lo, v17, v251
	v_add_co_ci_u32_e64 v18, null, v18, v252, vcc_lo
	s_delay_alu instid0(VALU_DEP_4)
	v_add_co_u32 v0, vcc_lo, s3, v0
	v_mov_b32_e32 v20, v33
	scratch_store_b32 off, v0, off offset:868 ; 4-byte Folded Spill
	v_add_co_ci_u32_e64 v0, null, s4, v19, vcc_lo
	scratch_store_b32 off, v0, off offset:872 ; 4-byte Folded Spill
	v_add_co_u32 v0, vcc_lo, s3, v17
	scratch_store_b32 off, v0, off offset:876 ; 4-byte Folded Spill
	v_add_co_ci_u32_e64 v0, null, s4, v18, vcc_lo
	v_add_co_u32 v15, vcc_lo, v15, v251
	s_delay_alu instid0(VALU_DEP_1)
	v_add_co_ci_u32_e64 v16, null, v16, v252, vcc_lo
	v_add_co_u32 v13, vcc_lo, v13, v251
	scratch_store_b32 off, v0, off offset:880 ; 4-byte Folded Spill
	v_add_co_ci_u32_e64 v14, null, v14, v252, vcc_lo
	v_add_co_u32 v0, vcc_lo, s3, v15
	v_mov_b32_e32 v18, v33
	scratch_store_b32 off, v0, off offset:884 ; 4-byte Folded Spill
	v_add_co_ci_u32_e64 v0, null, s4, v16, vcc_lo
	scratch_store_b32 off, v0, off offset:888 ; 4-byte Folded Spill
	v_add_co_u32 v0, vcc_lo, s3, v13
	scratch_store_b32 off, v0, off offset:892 ; 4-byte Folded Spill
	v_add_co_ci_u32_e64 v0, null, s4, v14, vcc_lo
	v_add_co_u32 v11, vcc_lo, v11, v251
	s_delay_alu instid0(VALU_DEP_1)
	v_add_co_ci_u32_e64 v12, null, v12, v252, vcc_lo
	v_add_co_u32 v9, vcc_lo, v9, v251
	scratch_store_b32 off, v0, off offset:896 ; 4-byte Folded Spill
	v_add_co_ci_u32_e64 v10, null, v10, v252, vcc_lo
	v_add_co_u32 v0, vcc_lo, s3, v11
	scratch_store_b32 off, v0, off offset:900 ; 4-byte Folded Spill
	v_add_co_ci_u32_e64 v0, null, s4, v12, vcc_lo
	scratch_store_b32 off, v0, off offset:904 ; 4-byte Folded Spill
	v_add_co_u32 v0, vcc_lo, s3, v9
	scratch_store_b32 off, v0, off offset:908 ; 4-byte Folded Spill
	v_add_co_ci_u32_e64 v0, null, s4, v10, vcc_lo
	v_add_co_u32 v7, vcc_lo, v7, v251
	s_delay_alu instid0(VALU_DEP_1)
	v_add_co_ci_u32_e64 v8, null, v8, v252, vcc_lo
	v_add_co_u32 v5, vcc_lo, v5, v251
	scratch_store_b32 off, v0, off offset:912 ; 4-byte Folded Spill
	v_add_co_ci_u32_e64 v6, null, v6, v252, vcc_lo
	v_add_co_u32 v0, vcc_lo, s3, v7
	scratch_store_b32 off, v0, off offset:916 ; 4-byte Folded Spill
	v_add_co_ci_u32_e64 v0, null, s4, v8, vcc_lo
	scratch_store_b32 off, v0, off offset:920 ; 4-byte Folded Spill
	v_add_co_u32 v0, vcc_lo, s3, v5
	scratch_store_b32 off, v0, off offset:924 ; 4-byte Folded Spill
	v_add_co_ci_u32_e64 v0, null, s4, v6, vcc_lo
	v_add_co_u32 v3, vcc_lo, v3, v251
	s_delay_alu instid0(VALU_DEP_1) | instskip(SKIP_1) | instid1(VALU_DEP_1)
	v_add_co_ci_u32_e64 v4, null, v4, v252, vcc_lo
	v_add_co_u32 v1, vcc_lo, v251, v1
	v_add_co_ci_u32_e64 v2, null, v252, v2, vcc_lo
	s_delay_alu instid0(VALU_DEP_4) | instskip(NEXT) | instid1(VALU_DEP_1)
	v_add_co_u32 v161, vcc_lo, s3, v3
	v_add_co_ci_u32_e64 v143, null, s4, v4, vcc_lo
	s_delay_alu instid0(VALU_DEP_4) | instskip(NEXT) | instid1(VALU_DEP_1)
	v_add_co_u32 v144, vcc_lo, s3, v1
	v_add_co_ci_u32_e64 v170, null, s4, v2, vcc_lo
	v_add_co_u32 v1, vcc_lo, v120, v81
	s_delay_alu instid0(VALU_DEP_1)
	v_add_co_ci_u32_e64 v2, null, v121, v82, vcc_lo
	v_add_co_u32 v3, vcc_lo, v118, v81
	s_add_u32 s3, s48, s66
	v_add_co_ci_u32_e64 v4, null, v119, v82, vcc_lo
	s_addc_u32 s4, s49, s67
	v_add_co_u32 v5, vcc_lo, s3, v1
	s_delay_alu instid0(VALU_DEP_1) | instskip(SKIP_1) | instid1(VALU_DEP_1)
	v_add_co_ci_u32_e64 v6, null, s4, v2, vcc_lo
	v_add_co_u32 v7, vcc_lo, s3, v3
	v_add_co_ci_u32_e64 v8, null, s4, v4, vcc_lo
	v_add_co_u32 v1, vcc_lo, v116, v81
	s_delay_alu instid0(VALU_DEP_1) | instskip(SKIP_1) | instid1(VALU_DEP_1)
	v_add_co_ci_u32_e64 v2, null, v117, v82, vcc_lo
	v_add_co_u32 v3, vcc_lo, v114, v81
	v_add_co_ci_u32_e64 v4, null, v115, v82, vcc_lo
	s_delay_alu instid0(VALU_DEP_4) | instskip(NEXT) | instid1(VALU_DEP_1)
	v_add_co_u32 v9, vcc_lo, s3, v1
	v_add_co_ci_u32_e64 v10, null, s4, v2, vcc_lo
	s_delay_alu instid0(VALU_DEP_4) | instskip(NEXT) | instid1(VALU_DEP_1)
	v_add_co_u32 v11, vcc_lo, s3, v3
	v_add_co_ci_u32_e64 v12, null, s4, v4, vcc_lo
	v_add_co_u32 v1, vcc_lo, v112, v81
	s_delay_alu instid0(VALU_DEP_1) | instskip(SKIP_1) | instid1(VALU_DEP_1)
	v_add_co_ci_u32_e64 v2, null, v113, v82, vcc_lo
	v_add_co_u32 v3, vcc_lo, v110, v81
	v_add_co_ci_u32_e64 v4, null, v111, v82, vcc_lo
	s_delay_alu instid0(VALU_DEP_4) | instskip(NEXT) | instid1(VALU_DEP_1)
	v_add_co_u32 v13, vcc_lo, s3, v1
	v_add_co_ci_u32_e64 v14, null, s4, v2, vcc_lo
	s_delay_alu instid0(VALU_DEP_4) | instskip(NEXT) | instid1(VALU_DEP_1)
	v_add_co_u32 v15, vcc_lo, s3, v3
	v_add_co_ci_u32_e64 v16, null, s4, v4, vcc_lo
	v_add_co_u32 v1, vcc_lo, v106, v81
	s_delay_alu instid0(VALU_DEP_1) | instskip(SKIP_1) | instid1(VALU_DEP_1)
	v_add_co_ci_u32_e64 v2, null, v107, v82, vcc_lo
	v_add_co_u32 v3, vcc_lo, v104, v81
	v_add_co_ci_u32_e64 v4, null, v105, v82, vcc_lo
	s_delay_alu instid0(VALU_DEP_4) | instskip(NEXT) | instid1(VALU_DEP_1)
	v_add_co_u32 v139, vcc_lo, s3, v1
	v_add_co_ci_u32_e64 v104, null, s4, v2, vcc_lo
	s_delay_alu instid0(VALU_DEP_4) | instskip(NEXT) | instid1(VALU_DEP_1)
	v_add_co_u32 v110, vcc_lo, s3, v3
	v_add_co_ci_u32_e64 v111, null, s4, v4, vcc_lo
	v_add_co_u32 v1, vcc_lo, v102, v81
	s_delay_alu instid0(VALU_DEP_1) | instskip(SKIP_1) | instid1(VALU_DEP_1)
	v_add_co_ci_u32_e64 v2, null, v103, v82, vcc_lo
	v_add_co_u32 v3, vcc_lo, v95, v81
	v_add_co_ci_u32_e64 v4, null, v96, v82, vcc_lo
	s_delay_alu instid0(VALU_DEP_4) | instskip(NEXT) | instid1(VALU_DEP_1)
	v_add_co_u32 v96, vcc_lo, s3, v1
	v_add_co_ci_u32_e64 v17, null, s4, v2, vcc_lo
	s_delay_alu instid0(VALU_DEP_4) | instskip(NEXT) | instid1(VALU_DEP_1)
	v_add_co_u32 v138, vcc_lo, s3, v3
	v_add_co_ci_u32_e64 v184, null, s4, v4, vcc_lo
	v_add_co_u32 v1, vcc_lo, v93, v81
	s_delay_alu instid0(VALU_DEP_1) | instskip(SKIP_1) | instid1(VALU_DEP_1)
	v_add_co_ci_u32_e64 v2, null, v94, v82, vcc_lo
	v_add_co_u32 v3, vcc_lo, v91, v81
	v_add_co_ci_u32_e64 v4, null, v92, v82, vcc_lo
	s_delay_alu instid0(VALU_DEP_4) | instskip(NEXT) | instid1(VALU_DEP_1)
	v_add_co_u32 v19, vcc_lo, s3, v1
	v_add_co_ci_u32_e64 v182, null, s4, v2, vcc_lo
	s_delay_alu instid0(VALU_DEP_4) | instskip(NEXT) | instid1(VALU_DEP_1)
	v_add_co_u32 v140, vcc_lo, s3, v3
	v_add_co_ci_u32_e64 v98, null, s4, v4, vcc_lo
	v_add_co_u32 v1, vcc_lo, v89, v81
	s_delay_alu instid0(VALU_DEP_1) | instskip(SKIP_1) | instid1(VALU_DEP_1)
	v_add_co_ci_u32_e64 v2, null, v90, v82, vcc_lo
	v_add_co_u32 v3, vcc_lo, v87, v81
	v_add_co_ci_u32_e64 v4, null, v88, v82, vcc_lo
	scratch_store_b32 off, v0, off offset:928 ; 4-byte Folded Spill
	v_add_co_u32 v0, vcc_lo, s3, v1
	s_delay_alu instid0(VALU_DEP_1) | instskip(SKIP_1) | instid1(VALU_DEP_1)
	v_add_co_ci_u32_e64 v44, null, s4, v2, vcc_lo
	v_add_co_u32 v43, vcc_lo, s3, v3
	v_add_co_ci_u32_e64 v42, null, s4, v4, vcc_lo
	v_add_co_u32 v1, vcc_lo, v85, v81
	s_delay_alu instid0(VALU_DEP_1) | instskip(SKIP_1) | instid1(VALU_DEP_1)
	v_add_co_ci_u32_e64 v2, null, v86, v82, vcc_lo
	v_add_co_u32 v3, vcc_lo, v81, v83
	v_add_co_ci_u32_e64 v4, null, v82, v84, vcc_lo
	s_delay_alu instid0(VALU_DEP_4)
	v_add_co_u32 v99, vcc_lo, s3, v1
	v_or_b32_e32 v1, 64, v64
	v_add_co_ci_u32_e64 v41, null, s4, v2, vcc_lo
	v_dual_mov_b32 v36, v33 :: v_dual_mov_b32 v25, v19
	scratch_store_b32 off, v1, off offset:2652 ; 4-byte Folded Spill
	v_or_b32_e32 v1, 0x80, v64
	v_mov_b32_e32 v2, v17
	v_mov_b32_e32 v17, v33
	;; [unrolled: 1-line block ×3, first 2 shown]
	v_add_co_u32 v3, vcc_lo, s3, v3
	scratch_store_b32 off, v1, off offset:2660 ; 4-byte Folded Spill
	v_or_b32_e32 v1, 0xc0, v64
	v_add_co_ci_u32_e64 v4, null, s4, v4, vcc_lo
	s_mov_b64 s[48:49], s[58:59]
	s_clause 0xa                            ; 164-byte Folded Spill
	scratch_store_b128 off, v[17:20], off offset:472
	scratch_store_b128 off, v[21:24], off offset:488
	;; [unrolled: 1-line block ×10, first 2 shown]
	scratch_store_b32 off, v1, off offset:2668
	v_or_b32_e32 v1, 0x100, v64
	s_clause 0x18                           ; 220-byte Folded Reload
	scratch_load_b32 v179, off, off offset:932
	scratch_load_b32 v180, off, off offset:936
	;; [unrolled: 1-line block ×15, first 2 shown]
	scratch_load_b128 v[33:36], off, off offset:1700
	scratch_load_b128 v[37:40], off, off offset:1716
	;; [unrolled: 1-line block ×10, first 2 shown]
	scratch_store_b32 off, v1, off offset:2676 ; 4-byte Folded Spill
	v_or_b32_e32 v1, 0x140, v64
	scratch_store_b32 off, v1, off offset:1180 ; 4-byte Folded Spill
	v_or_b32_e32 v1, 0x180, v64
	;; [unrolled: 2-line block ×122, first 2 shown]
	s_clause 0x1                            ; 8-byte Folded Spill
	scratch_store_b32 off, v1, off offset:2628
	scratch_store_b32 off, v64, off offset:2644
	v_or_b32_e32 v1, 0xfe0, v64
	s_clause 0x1                            ; 8-byte Folded Spill
	scratch_store_b32 off, v1, off offset:2636
	scratch_store_b32 off, v74, off offset:2516
.LBB0_68:                               ; =>This Inner Loop Header: Depth=1
	.loc	1 72 19                         ; attention_bwd.py:72:19 @[ attention_bwd.py:200:26 ]
	v_add_co_u32 v73, vcc_lo, v3, s52
	s_delay_alu instid0(VALU_DEP_1)
	v_add_co_ci_u32_e64 v74, null, s53, v4, vcc_lo
	s_waitcnt vmcnt(10)
	s_clause 0x1f                           ; 128-byte Folded Spill
	scratch_store_b32 off, v20, off offset:240
	scratch_store_b32 off, v22, off offset:224
	scratch_store_b32 off, v19, off offset:232
	scratch_store_b32 off, v21, off offset:160
	scratch_store_b32 off, v18, off offset:192
	scratch_store_b32 off, v125, off offset:1116
	scratch_store_b32 off, v4, off offset:1040
	scratch_store_b32 off, v3, off offset:1036
	scratch_store_b32 off, v41, off offset:1032
	scratch_store_b32 off, v96, off offset:1028
	scratch_store_b32 off, v111, off offset:1024
	scratch_store_b32 off, v110, off offset:1020
	scratch_store_b32 off, v104, off offset:1016
	scratch_store_b32 off, v16, off offset:1012
	scratch_store_b32 off, v15, off offset:1008
	scratch_store_b32 off, v14, off offset:1004
	scratch_store_b32 off, v13, off offset:1000
	scratch_store_b32 off, v12, off offset:996
	scratch_store_b32 off, v11, off offset:992
	scratch_store_b32 off, v10, off offset:988
	scratch_store_b32 off, v9, off offset:984
	scratch_store_b32 off, v8, off offset:980
	scratch_store_b32 off, v7, off offset:976
	scratch_store_b32 off, v6, off offset:972
	scratch_store_b32 off, v5, off offset:968
	scratch_store_b32 off, v124, off offset:964
	scratch_store_b32 off, v123, off offset:960
	scratch_store_b32 off, v122, off offset:956
	scratch_store_b32 off, v80, off offset:952
	scratch_store_b32 off, v79, off offset:948
	scratch_store_b32 off, v78, off offset:944
	scratch_store_b32 off, v77, off offset:940
	s_clause 0x1                            ; 8-byte Folded Spill
	scratch_store_b32 off, v76, off offset:936
	scratch_store_b32 off, v75, off offset:932
	v_dual_mov_b32 v169, v144 :: v_dual_mov_b32 v144, v143
	.loc	1 48 21                         ; attention_bwd.py:48:21 @[ attention_bwd.py:200:26 ]
	global_load_u16 v1, v[73:74], off
	.loc	1 72 19                         ; attention_bwd.py:72:19 @[ attention_bwd.py:200:26 ]
	v_add_co_u32 v73, vcc_lo, v99, s52
	s_delay_alu instid0(VALU_DEP_1)
	v_add_co_ci_u32_e64 v74, null, s53, v41, vcc_lo
	v_mov_b32_e32 v41, v23
	v_mov_b32_e32 v143, v161
	v_mov_b32_e32 v105, v139
	.loc	1 47 25                         ; attention_bwd.py:47:25 @[ attention_bwd.py:200:26 ]
	v_add_co_u32 v99, s33, v99, s66
	.loc	1 72 19                         ; attention_bwd.py:72:19 @[ attention_bwd.py:200:26 ]
	scratch_store_b32 off, v2, off offset:1044 ; 4-byte Folded Spill
	s_waitcnt vmcnt(0)
	scratch_store_b32 off, v1, off offset:1052 ; 4-byte Folded Spill
	.loc	1 48 21                         ; attention_bwd.py:48:21 @[ attention_bwd.py:200:26 ]
	global_load_u16 v1, v[73:74], off
	.loc	1 72 19                         ; attention_bwd.py:72:19 @[ attention_bwd.py:200:26 ]
	v_add_co_u32 v73, vcc_lo, v43, s52
	s_delay_alu instid0(VALU_DEP_1) | instskip(SKIP_1) | instid1(VALU_DEP_1)
	v_add_co_ci_u32_e64 v74, null, s53, v42, vcc_lo
	.loc	1 47 25                         ; attention_bwd.py:47:25 @[ attention_bwd.py:200:26 ]
	v_add_co_u32 v43, s31, v43, s66
	v_add_co_ci_u32_e64 v42, null, s67, v42, s31
	.loc	1 72 19                         ; attention_bwd.py:72:19 @[ attention_bwd.py:200:26 ]
	s_waitcnt vmcnt(0)
	scratch_store_b32 off, v1, off offset:1056 ; 4-byte Folded Spill
	.loc	1 48 21                         ; attention_bwd.py:48:21 @[ attention_bwd.py:200:26 ]
	global_load_u16 v1, v[73:74], off
	.loc	1 72 19                         ; attention_bwd.py:72:19 @[ attention_bwd.py:200:26 ]
	v_add_co_u32 v73, vcc_lo, v0, s52
	s_delay_alu instid0(VALU_DEP_1) | instskip(SKIP_4) | instid1(VALU_DEP_1)
	v_add_co_ci_u32_e64 v74, null, s53, v44, vcc_lo
	s_waitcnt vmcnt(0)
	scratch_store_b32 off, v1, off offset:1060 ; 4-byte Folded Spill
	.loc	1 48 21                         ; attention_bwd.py:48:21 @[ attention_bwd.py:200:26 ]
	global_load_u16 v1, v[73:74], off
	.loc	1 72 19                         ; attention_bwd.py:72:19 @[ attention_bwd.py:200:26 ]
	v_add_co_u32 v73, vcc_lo, v140, s52
	v_add_co_ci_u32_e64 v74, null, s53, v98, vcc_lo
	.loc	1 47 25                         ; attention_bwd.py:47:25 @[ attention_bwd.py:200:26 ]
	v_add_co_u32 v140, s29, v140, s66
	s_delay_alu instid0(VALU_DEP_1) | instskip(SKIP_4) | instid1(VALU_DEP_1)
	v_add_co_ci_u32_e64 v98, null, s67, v98, s29
	.loc	1 72 19                         ; attention_bwd.py:72:19 @[ attention_bwd.py:200:26 ]
	s_waitcnt vmcnt(0)
	scratch_store_b32 off, v1, off offset:1064 ; 4-byte Folded Spill
	.loc	1 48 21                         ; attention_bwd.py:48:21 @[ attention_bwd.py:200:26 ]
	global_load_u16 v1, v[73:74], off
	.loc	1 72 19                         ; attention_bwd.py:72:19 @[ attention_bwd.py:200:26 ]
	v_add_co_u32 v73, vcc_lo, v25, s52
	v_add_co_ci_u32_e64 v74, null, s53, v182, vcc_lo
	s_waitcnt vmcnt(0)
	s_clause 0x1                            ; 8-byte Folded Spill
	scratch_store_b32 off, v1, off offset:1068
	scratch_store_b32 off, v25, off offset:1048
	.loc	1 48 21                         ; attention_bwd.py:48:21 @[ attention_bwd.py:200:26 ]
	global_load_u16 v1, v[73:74], off
	.loc	1 72 19                         ; attention_bwd.py:72:19 @[ attention_bwd.py:200:26 ]
	v_add_co_u32 v73, vcc_lo, v138, s52
	s_delay_alu instid0(VALU_DEP_1) | instskip(SKIP_1) | instid1(VALU_DEP_1)
	v_add_co_ci_u32_e64 v74, null, s53, v184, vcc_lo
	.loc	1 47 25                         ; attention_bwd.py:47:25 @[ attention_bwd.py:200:26 ]
	v_add_co_u32 v138, s27, v138, s66
	v_add_co_ci_u32_e64 v184, null, s67, v184, s27
	.loc	1 72 19                         ; attention_bwd.py:72:19 @[ attention_bwd.py:200:26 ]
	s_waitcnt vmcnt(0)
	scratch_store_b32 off, v1, off offset:1072 ; 4-byte Folded Spill
	.loc	1 48 21                         ; attention_bwd.py:48:21 @[ attention_bwd.py:200:26 ]
	global_load_u16 v1, v[73:74], off
	.loc	1 72 19                         ; attention_bwd.py:72:19 @[ attention_bwd.py:200:26 ]
	v_add_co_u32 v73, vcc_lo, v96, s52
	s_delay_alu instid0(VALU_DEP_1) | instskip(SKIP_4) | instid1(VALU_DEP_1)
	v_add_co_ci_u32_e64 v74, null, s53, v2, vcc_lo
	s_waitcnt vmcnt(0)
	scratch_store_b32 off, v1, off offset:1076 ; 4-byte Folded Spill
	.loc	1 48 21                         ; attention_bwd.py:48:21 @[ attention_bwd.py:200:26 ]
	global_load_u16 v1, v[73:74], off
	.loc	1 72 19                         ; attention_bwd.py:72:19 @[ attention_bwd.py:200:26 ]
	v_add_co_u32 v73, vcc_lo, v110, s52
	v_add_co_ci_u32_e64 v74, null, s53, v111, vcc_lo
	s_waitcnt vmcnt(0)
	scratch_store_b32 off, v1, off offset:1080 ; 4-byte Folded Spill
	.loc	1 48 21                         ; attention_bwd.py:48:21 @[ attention_bwd.py:200:26 ]
	global_load_u16 v1, v[73:74], off
	.loc	1 72 19                         ; attention_bwd.py:72:19 @[ attention_bwd.py:200:26 ]
	v_add_co_u32 v73, vcc_lo, v139, s52
	s_delay_alu instid0(VALU_DEP_1) | instskip(SKIP_4) | instid1(VALU_DEP_1)
	v_add_co_ci_u32_e64 v74, null, s53, v104, vcc_lo
	s_waitcnt vmcnt(0)
	scratch_store_b32 off, v1, off offset:1084 ; 4-byte Folded Spill
	.loc	1 48 21                         ; attention_bwd.py:48:21 @[ attention_bwd.py:200:26 ]
	global_load_u16 v1, v[73:74], off
	.loc	1 72 19                         ; attention_bwd.py:72:19 @[ attention_bwd.py:200:26 ]
	v_add_co_u32 v73, vcc_lo, v15, s52
	v_add_co_ci_u32_e64 v74, null, s53, v16, vcc_lo
	;; [unrolled: 15-line block ×4, first 2 shown]
	s_waitcnt vmcnt(0)
	scratch_store_b32 off, v1, off offset:1104 ; 4-byte Folded Spill
	.loc	1 48 21                         ; attention_bwd.py:48:21 @[ attention_bwd.py:200:26 ]
	global_load_u16 v1, v[73:74], off
	.loc	1 73 19                         ; attention_bwd.py:73:19 @[ attention_bwd.py:200:26 ]
	v_add_co_u32 v73, vcc_lo, v5, s52
	s_delay_alu instid0(VALU_DEP_1)
	v_add_co_ci_u32_e64 v74, null, s53, v6, vcc_lo
	s_waitcnt vmcnt(0)
	scratch_store_b32 off, v1, off offset:1108 ; 4-byte Folded Spill
	.loc	1 48 21                         ; attention_bwd.py:48:21 @[ attention_bwd.py:200:26 ]
	global_load_u16 v1, v[73:74], off
	.loc	1 52 24                         ; attention_bwd.py:52:24 @[ attention_bwd.py:200:26 ]
	v_dual_mov_b32 v80, s43 :: v_dual_mov_b32 v79, s42
	v_dual_mov_b32 v78, s41 :: v_dual_mov_b32 v77, s40
	;; [unrolled: 1-line block ×4, first 2 shown]
	.loc	1 69 26                         ; attention_bwd.py:69:26 @[ attention_bwd.py:200:26 ]
	s_waitcnt vmcnt(0)
	scratch_store_b32 off, v1, off offset:1112 ; 4-byte Folded Spill
	s_waitcnt lgkmcnt(0)
	s_waitcnt_vscnt null, 0x0
	s_barrier
	buffer_gl0_inv
	.loc	1 52 24                         ; attention_bwd.py:52:24 @[ attention_bwd.py:200:26 ]
	s_clause 0x7                            ; 128-byte Folded Reload
	scratch_load_b128 v[25:28], off, off offset:1636
	scratch_load_b128 v[29:32], off, off offset:1652
	scratch_load_b128 v[17:20], off, off offset:1604
	scratch_load_b128 v[21:24], off, off offset:1620
	scratch_load_b128 v[161:164], off, off offset:1476
	scratch_load_b128 v[165:168], off, off offset:1492
	scratch_load_b128 v[5:8], off, off offset:728
	scratch_load_b128 v[9:12], off, off offset:744
	.loc	1 66 24                         ; attention_bwd.py:66:24 @[ attention_bwd.py:200:26 ]
	ds_load_b128 v[89:92], v181 offset:4096
	ds_load_b128 v[93:96], v181 offset:4112
	ds_load_b128 v[81:84], v181 offset:4128
	ds_load_b128 v[85:88], v181 offset:4144
	s_clause 0x11                           ; 288-byte Folded Reload
	scratch_load_b128 v[45:48], off, off offset:312
	scratch_load_b128 v[49:52], off, off offset:328
	;; [unrolled: 1-line block ×18, first 2 shown]
	s_waitcnt lgkmcnt(2)
	v_wmma_f32_16x16x16_f16 v[110:117], v[89:96], v[33:40], v[73:80]
	v_wmma_f32_16x16x16_f16 v[118:125], v[89:96], v[233:240], v[73:80]
	s_waitcnt vmcnt(24) lgkmcnt(0)
	s_delay_alu instid0(VALU_DEP_2) | instskip(SKIP_1) | instid1(VALU_DEP_2)
	v_wmma_f32_16x16x16_f16 v[110:117], v[81:88], v[25:32], v[110:117]
	s_waitcnt vmcnt(22)
	v_wmma_f32_16x16x16_f16 v[118:125], v[81:88], v[17:24], v[118:125]
	ds_load_b128 v[81:84], v181 offset:4160
	ds_load_b128 v[85:88], v181 offset:4176
	s_waitcnt lgkmcnt(0)
	v_wmma_f32_16x16x16_f16 v[110:117], v[81:88], v[185:192], v[110:117]
	v_wmma_f32_16x16x16_f16 v[118:125], v[81:88], v[217:224], v[118:125]
	ds_load_b128 v[81:84], v181 offset:4192
	ds_load_b128 v[85:88], v181 offset:4208
	s_waitcnt lgkmcnt(0)
	v_wmma_f32_16x16x16_f16 v[110:117], v[81:88], v[153:160], v[110:117]
	s_waitcnt vmcnt(20)
	v_wmma_f32_16x16x16_f16 v[118:125], v[81:88], v[161:168], v[118:125]
	v_dual_mov_b32 v81, v97 :: v_dual_mov_b32 v88, v126
	v_mov_b32_e32 v82, v254
	v_dual_mov_b32 v83, v250 :: v_dual_mov_b32 v84, v249
	s_delay_alu instid0(VALU_DEP_3) | instskip(SKIP_1) | instid1(VALU_DEP_3)
	v_dual_mov_b32 v85, v129 :: v_dual_sub_f32 v126, v110, v81
	v_dual_mov_b32 v86, v128 :: v_dual_mov_b32 v87, v127
	.loc	1 67 26                         ; attention_bwd.py:67:26 @[ attention_bwd.py:200:26 ]
	v_dual_sub_f32 v128, v112, v83 :: v_dual_sub_f32 v127, v111, v82
	s_delay_alu instid0(VALU_DEP_2) | instskip(NEXT) | instid1(VALU_DEP_4)
	v_dual_sub_f32 v129, v113, v84 :: v_dual_sub_f32 v250, v115, v86
	v_dual_sub_f32 v249, v114, v85 :: v_dual_sub_f32 v104, v120, v83
	s_delay_alu instid0(VALU_DEP_4)
	v_dual_sub_f32 v254, v116, v87 :: v_dual_sub_f32 v97, v117, v88
	v_dual_sub_f32 v102, v118, v81 :: v_dual_sub_f32 v103, v119, v82
	v_sub_f32_e32 v4, v125, v88
	v_dual_sub_f32 v139, v121, v84 :: v_dual_sub_f32 v2, v123, v86
	v_sub_f32_e32 v1, v122, v85
	v_sub_f32_e32 v3, v124, v87
	.loc	1 48 21                         ; attention_bwd.py:48:21 @[ attention_bwd.py:200:26 ]
	ds_load_u16 v87, v253 offset:768
	ds_load_u16 v81, v253
	ds_load_u16 v82, v253 offset:128
	ds_load_u16 v83, v253 offset:256
	;; [unrolled: 1-line block ×14, first 2 shown]
	s_waitcnt lgkmcnt(15)
	ds_load_u16_d16_hi v87, v253 offset:832
	s_waitcnt lgkmcnt(15)
	ds_load_u16_d16_hi v81, v253 offset:64
	;; [unrolled: 2-line block ×16, first 2 shown]
	.loc	1 52 24                         ; attention_bwd.py:52:24 @[ attention_bwd.py:200:26 ]
	s_waitcnt vmcnt(18) lgkmcnt(8)
	v_wmma_f32_16x16x16_f16 v[110:117], v[81:88], v[5:12], v[73:80]
	s_clause 0x1                            ; 32-byte Folded Reload
	scratch_load_b128 v[5:8], off, off offset:696
	scratch_load_b128 v[9:12], off, off offset:712
	s_waitcnt vmcnt(0)
	v_wmma_f32_16x16x16_f16 v[118:125], v[81:88], v[5:12], v[73:80]
	s_clause 0x1                            ; 32-byte Folded Reload
	scratch_load_b128 v[5:8], off, off offset:664
	scratch_load_b128 v[9:12], off, off offset:680
	.loc	1 48 21                         ; attention_bwd.py:48:21 @[ attention_bwd.py:200:26 ]
	ds_load_u16 v81, v253 offset:2048
	ds_load_u16 v82, v253 offset:2176
	;; [unrolled: 1-line block ×8, first 2 shown]
	s_waitcnt lgkmcnt(7)
	ds_load_u16_d16_hi v81, v253 offset:2112
	s_waitcnt lgkmcnt(7)
	ds_load_u16_d16_hi v82, v253 offset:2240
	;; [unrolled: 2-line block ×8, first 2 shown]
	.loc	1 52 24                         ; attention_bwd.py:52:24 @[ attention_bwd.py:200:26 ]
	s_waitcnt vmcnt(0)
	v_wmma_f32_16x16x16_f16 v[110:117], v[89:96], v[5:12], v[110:117]
	s_clause 0x1                            ; 32-byte Folded Reload
	scratch_load_b128 v[5:8], off, off offset:632
	scratch_load_b128 v[9:12], off, off offset:648
	s_waitcnt vmcnt(0)
	v_wmma_f32_16x16x16_f16 v[118:125], v[89:96], v[5:12], v[118:125]
	s_clause 0x1                            ; 32-byte Folded Reload
	scratch_load_b128 v[5:8], off, off offset:600
	scratch_load_b128 v[9:12], off, off offset:616
	s_waitcnt vmcnt(0) lgkmcnt(0)
	v_wmma_f32_16x16x16_f16 v[110:117], v[81:88], v[5:12], v[110:117]
	s_clause 0x1                            ; 32-byte Folded Reload
	scratch_load_b128 v[5:8], off, off offset:568
	scratch_load_b128 v[9:12], off, off offset:584
	s_waitcnt vmcnt(0)
	v_wmma_f32_16x16x16_f16 v[118:125], v[81:88], v[5:12], v[118:125]
	s_clause 0x1                            ; 32-byte Folded Reload
	scratch_load_b128 v[5:8], off, off offset:536
	scratch_load_b128 v[9:12], off, off offset:552
	.loc	1 48 21                         ; attention_bwd.py:48:21 @[ attention_bwd.py:200:26 ]
	ds_load_u16 v81, v253 offset:3072
	ds_load_u16 v83, v253 offset:3328
	;; [unrolled: 1-line block ×8, first 2 shown]
	s_waitcnt lgkmcnt(7)
	ds_load_u16_d16_hi v81, v253 offset:3136
	s_waitcnt lgkmcnt(7)
	ds_load_u16_d16_hi v83, v253 offset:3392
	;; [unrolled: 2-line block ×8, first 2 shown]
	.loc	1 52 24                         ; attention_bwd.py:52:24 @[ attention_bwd.py:200:26 ]
	s_waitcnt vmcnt(0) lgkmcnt(0)
	v_wmma_f32_16x16x16_f16 v[110:117], v[81:88], v[5:12], v[110:117]
	s_clause 0x1                            ; 32-byte Folded Reload
	scratch_load_b128 v[5:8], off, off offset:504
	scratch_load_b128 v[9:12], off, off offset:520
	s_waitcnt vmcnt(0)
	v_wmma_f32_16x16x16_f16 v[118:125], v[81:88], v[5:12], v[118:125]
	.loc	1 53 32                         ; attention_bwd.py:53:32 @[ attention_bwd.py:200:26 ]
	v_dual_sub_f32 v5, v110, v137 :: v_dual_sub_f32 v88, v117, v131
	v_dual_sub_f32 v6, v111, v130 :: v_dual_sub_f32 v7, v112, v136
	s_delay_alu instid0(VALU_DEP_3) | instskip(NEXT) | instid1(VALU_DEP_3)
	v_sub_f32_e32 v10, v119, v130
	.loc	1 53 26 is_stmt 0               ; attention_bwd.py:53:26 @[ attention_bwd.py:200:26 ]
	v_exp_f32_e32 v5, v5
	.loc	1 53 32                         ; attention_bwd.py:53:32 @[ attention_bwd.py:200:26 ]
	v_dual_sub_f32 v8, v113, v135 :: v_dual_sub_f32 v85, v114, v134
	v_sub_f32_e32 v12, v121, v135
	.loc	1 53 26                         ; attention_bwd.py:53:26 @[ attention_bwd.py:200:26 ]
	v_exp_f32_e32 v6, v6
	v_exp_f32_e32 v7, v7
	.loc	1 53 32                         ; attention_bwd.py:53:32 @[ attention_bwd.py:200:26 ]
	v_dual_sub_f32 v86, v115, v133 :: v_dual_sub_f32 v87, v116, v132
	v_sub_f32_e32 v14, v123, v133
	.loc	1 53 26                         ; attention_bwd.py:53:26 @[ attention_bwd.py:200:26 ]
	v_exp_f32_e32 v8, v8
	.loc	1 68 21 is_stmt 1               ; attention_bwd.py:68:21 @[ attention_bwd.py:200:26 ]
	v_fma_mixlo_f16 v82, v5, v126, 0
	.loc	1 53 26                         ; attention_bwd.py:53:26 @[ attention_bwd.py:200:26 ]
	v_exp_f32_e32 v126, v85
	.loc	1 53 32 is_stmt 0               ; attention_bwd.py:53:32 @[ attention_bwd.py:200:26 ]
	v_dual_sub_f32 v9, v118, v137 :: v_dual_sub_f32 v16, v125, v131
	v_sub_f32_e32 v11, v120, v136
	s_delay_alu instid0(VALU_DEP_3) | instskip(NEXT) | instid1(TRANS32_DEP_3)
	.loc	1 68 21 is_stmt 1               ; attention_bwd.py:68:21 @[ attention_bwd.py:200:26 ]
	v_fma_mixhi_f16 v82, v6, v127, 0
	v_fma_mixlo_f16 v84, v7, v128, 0
	.loc	1 53 26                         ; attention_bwd.py:53:26 @[ attention_bwd.py:200:26 ]
	v_exp_f32_e32 v127, v86
	v_exp_f32_e32 v128, v87
	.loc	1 53 32 is_stmt 0               ; attention_bwd.py:53:32 @[ attention_bwd.py:200:26 ]
	v_sub_f32_e32 v13, v122, v134
	.loc	1 68 21 is_stmt 1               ; attention_bwd.py:68:21 @[ attention_bwd.py:200:26 ]
	v_permlanex16_b32 v83, v82, s61, 0xfedcba98 op_sel:[1,0]
	v_fma_mixhi_f16 v84, v8, v129, 0
	v_fma_mixlo_f16 v86, v126, v249, 0
	.loc	1 53 26                         ; attention_bwd.py:53:26 @[ attention_bwd.py:200:26 ]
	v_exp_f32_e32 v129, v88
	.loc	1 53 32 is_stmt 0               ; attention_bwd.py:53:32 @[ attention_bwd.py:200:26 ]
	v_sub_f32_e32 v15, v124, v132
	.loc	1 68 21 is_stmt 1               ; attention_bwd.py:68:21 @[ attention_bwd.py:200:26 ]
	v_perm_b32 v81, v83, v82, v100
	v_permlanex16_b32 v89, v84, s61, 0xfedcba98 op_sel:[1,0]
	v_fma_mixhi_f16 v86, v127, v250, 0
	v_fma_mixlo_f16 v88, v128, v254, 0
	v_perm_b32 v82, v83, v82, v101
	.loc	1 53 26                         ; attention_bwd.py:53:26 @[ attention_bwd.py:200:26 ]
	v_exp_f32_e32 v9, v9
	.loc	1 68 21                         ; attention_bwd.py:68:21 @[ attention_bwd.py:200:26 ]
	v_perm_b32 v83, v89, v84, v100
	v_perm_b32 v84, v89, v84, v101
	v_permlanex16_b32 v89, v86, s61, 0xfedcba98 op_sel:[1,0]
	v_fma_mixhi_f16 v88, v129, v97, 0
	.loc	1 53 26                         ; attention_bwd.py:53:26 @[ attention_bwd.py:200:26 ]
	v_exp_f32_e32 v11, v11
	v_exp_f32_e32 v10, v10
	;; [unrolled: 1-line block ×3, first 2 shown]
	.loc	1 68 21                         ; attention_bwd.py:68:21 @[ attention_bwd.py:200:26 ]
	v_perm_b32 v85, v89, v86, v100
	v_perm_b32 v86, v89, v86, v101
	v_permlanex16_b32 v89, v88, s61, 0xfedcba98 op_sel:[1,0]
	v_mov_b32_e32 v254, v0
	v_mov_b32_e32 v0, v208
	s_clause 0x1                            ; 32-byte Folded Reload
	scratch_load_b128 v[201:204], off, off offset:376
	scratch_load_b128 v[205:208], off, off offset:392
	.loc	1 53 26                         ; attention_bwd.py:53:26 @[ attention_bwd.py:200:26 ]
	v_exp_f32_e32 v13, v13
	.loc	1 68 21                         ; attention_bwd.py:68:21 @[ attention_bwd.py:200:26 ]
	v_perm_b32 v87, v89, v88, v100
	v_perm_b32 v88, v89, v88, v101
	.loc	1 69 26                         ; attention_bwd.py:69:26 @[ attention_bwd.py:200:26 ]
	ds_load_b128 v[89:92], v183
	ds_load_b128 v[93:96], v183 offset:16
	ds_load_b128 v[110:113], v183 offset:1024
	;; [unrolled: 1-line block ×7, first 2 shown]
	.loc	1 53 26                         ; attention_bwd.py:53:26 @[ attention_bwd.py:200:26 ]
	v_exp_f32_e32 v14, v14
	.loc	1 68 21                         ; attention_bwd.py:68:21 @[ attention_bwd.py:200:26 ]
	v_fma_mixlo_f16 v1, v13, v1, 0
	s_waitcnt_depctr depctr_va_vdst(0)
	v_fma_mixhi_f16 v1, v14, v2, 0
	.loc	1 69 26                         ; attention_bwd.py:69:26 @[ attention_bwd.py:200:26 ]
	s_waitcnt lgkmcnt(6)
	v_wmma_f32_16x16x16_f16 v[45:52], v[89:96], v[81:88], v[45:52]
	s_waitcnt lgkmcnt(4)
	v_wmma_f32_16x16x16_f16 v[145:152], v[110:117], v[81:88], v[145:152]
	.loc	1 68 21                         ; attention_bwd.py:68:21 @[ attention_bwd.py:200:26 ]
	v_permlanex16_b32 v2, v1, s61, 0xfedcba98 op_sel:[1,0]
	.loc	1 69 26                         ; attention_bwd.py:69:26 @[ attention_bwd.py:200:26 ]
	s_waitcnt lgkmcnt(2)
	v_wmma_f32_16x16x16_f16 v[61:68], v[118:125], v[81:88], v[61:68]
	s_waitcnt lgkmcnt(0)
	v_wmma_f32_16x16x16_f16 v[53:60], v[130:137], v[81:88], v[53:60]
	.loc	1 68 21                         ; attention_bwd.py:68:21 @[ attention_bwd.py:200:26 ]
	v_fma_mixlo_f16 v82, v9, v102, 0
	v_fma_mixlo_f16 v84, v11, v104, 0
	v_perm_b32 v86, v2, v1, v101
	s_delay_alu instid0(VALU_DEP_3) | instskip(NEXT) | instid1(VALU_DEP_3)
	v_fma_mixhi_f16 v82, v10, v103, 0
	v_fma_mixhi_f16 v84, v12, v139, 0
	v_mov_b32_e32 v139, v105
	s_clause 0x1                            ; 32-byte Folded Reload
	scratch_load_b128 v[102:105], off, off offset:248
	scratch_load_b128 v[106:109], off, off offset:264
	v_permlanex16_b32 v83, v82, s61, 0xfedcba98 op_sel:[1,0]
	v_permlanex16_b32 v85, v84, s61, 0xfedcba98 op_sel:[1,0]
	.loc	1 47 25                         ; attention_bwd.py:47:25 @[ attention_bwd.py:200:26 ]
	v_add_co_u32 v139, s24, v139, s66
	s_delay_alu instid0(VALU_DEP_3) | instskip(SKIP_1) | instid1(VALU_DEP_4)
	.loc	1 68 21                         ; attention_bwd.py:68:21 @[ attention_bwd.py:200:26 ]
	v_perm_b32 v81, v83, v82, v100
	v_perm_b32 v82, v83, v82, v101
	;; [unrolled: 1-line block ×5, first 2 shown]
	.loc	1 53 26                         ; attention_bwd.py:53:26 @[ attention_bwd.py:200:26 ]
	v_exp_f32_e32 v1, v15
	v_exp_f32_e32 v2, v16
	.loc	1 68 21                         ; attention_bwd.py:68:21 @[ attention_bwd.py:200:26 ]
	s_waitcnt_depctr depctr_va_vdst(0)
	v_fma_mixlo_f16 v3, v1, v3, 0
	.loc	1 61 21                         ; attention_bwd.py:61:21 @[ attention_bwd.py:200:26 ]
	v_cvt_f16_f32_e32 v1, v1
	s_delay_alu instid0(VALU_DEP_2) | instskip(SKIP_1) | instid1(VALU_DEP_2)
	.loc	1 68 21                         ; attention_bwd.py:68:21 @[ attention_bwd.py:200:26 ]
	v_fma_mixhi_f16 v3, v2, v4, 0
	.loc	1 61 21                         ; attention_bwd.py:61:21 @[ attention_bwd.py:200:26 ]
	v_cvt_f16_f32_e32 v2, v2
	.loc	1 68 21                         ; attention_bwd.py:68:21 @[ attention_bwd.py:200:26 ]
	v_permlanex16_b32 v4, v3, s61, 0xfedcba98 op_sel:[1,0]
	s_delay_alu instid0(VALU_DEP_2) | instskip(NEXT) | instid1(VALU_DEP_2)
	.loc	1 61 21                         ; attention_bwd.py:61:21 @[ attention_bwd.py:200:26 ]
	v_pack_b32_f16 v1, v1, v2
	.loc	1 68 21                         ; attention_bwd.py:68:21 @[ attention_bwd.py:200:26 ]
	v_perm_b32 v87, v4, v3, v100
	v_perm_b32 v88, v4, v3, v101
	.loc	1 61 21                         ; attention_bwd.py:61:21 @[ attention_bwd.py:200:26 ]
	v_cvt_f16_f32_e32 v3, v5
	v_cvt_f16_f32_e32 v4, v6
	v_permlanex16_b32 v2, v1, s61, 0xfedcba98 op_sel:[1,0]
	s_delay_alu instid0(VALU_DEP_4) | instskip(SKIP_1) | instid1(VALU_DEP_4)
	.loc	1 69 26                         ; attention_bwd.py:69:26 @[ attention_bwd.py:200:26 ]
	v_wmma_f32_16x16x16_f16 v[171:178], v[89:96], v[81:88], v[171:178]
	v_wmma_f32_16x16x16_f16 v[193:200], v[118:125], v[81:88], v[193:200]
	.loc	1 61 21                         ; attention_bwd.py:61:21 @[ attention_bwd.py:200:26 ]
	v_pack_b32_f16 v3, v3, v4
	s_delay_alu instid0(VALU_DEP_4) | instskip(SKIP_1) | instid1(VALU_DEP_3)
	v_perm_b32 v95, v2, v1, v100
	v_perm_b32 v96, v2, v1, v101
	v_permlanex16_b32 v4, v3, s61, 0xfedcba98 op_sel:[1,0]
	.loc	1 69 26                         ; attention_bwd.py:69:26 @[ attention_bwd.py:200:26 ]
	s_waitcnt vmcnt(2)
	v_wmma_f32_16x16x16_f16 v[201:208], v[110:117], v[81:88], v[201:208]
	.loc	1 58 21                         ; attention_bwd.py:58:21 @[ attention_bwd.py:200:26 ]
	ds_load_u16 v112, v253 offset:4608
	ds_load_u16 v113, v253 offset:4864
	;; [unrolled: 1-line block ×8, first 2 shown]
	s_waitcnt lgkmcnt(7)
	ds_load_u16_d16_hi v112, v253 offset:4736
	s_waitcnt lgkmcnt(7)
	ds_load_u16_d16_hi v113, v253 offset:4992
	;; [unrolled: 2-line block ×8, first 2 shown]
	.loc	1 69 26                         ; attention_bwd.py:69:26 @[ attention_bwd.py:200:26 ]
	s_waitcnt vmcnt(0)
	v_wmma_f32_16x16x16_f16 v[102:109], v[130:137], v[81:88], v[102:109]
	.loc	1 61 21                         ; attention_bwd.py:61:21 @[ attention_bwd.py:200:26 ]
	v_perm_b32 v81, v4, v3, v100
	v_perm_b32 v82, v4, v3, v101
	v_cvt_f16_f32_e32 v3, v7
	v_cvt_f16_f32_e32 v4, v8
	s_delay_alu instid0(VALU_DEP_1) | instskip(NEXT) | instid1(VALU_DEP_1)
	v_pack_b32_f16 v3, v3, v4
	v_permlanex16_b32 v4, v3, s61, 0xfedcba98 op_sel:[1,0]
	s_delay_alu instid0(VALU_DEP_1) | instskip(SKIP_3) | instid1(VALU_DEP_1)
	v_perm_b32 v83, v4, v3, v100
	v_perm_b32 v84, v4, v3, v101
	v_cvt_f16_f32_e32 v3, v126
	v_cvt_f16_f32_e32 v4, v127
	v_pack_b32_f16 v3, v3, v4
	s_delay_alu instid0(VALU_DEP_1) | instskip(NEXT) | instid1(VALU_DEP_1)
	v_permlanex16_b32 v4, v3, s61, 0xfedcba98 op_sel:[1,0]
	v_perm_b32 v85, v4, v3, v100
	v_perm_b32 v86, v4, v3, v101
	v_cvt_f16_f32_e64 v3, v128
	v_cvt_f16_f32_e64 v4, v129
	s_delay_alu instid0(VALU_DEP_1) | instskip(NEXT) | instid1(VALU_DEP_1)
	v_pack_b32_f16 v3, v3, v4
	v_permlanex16_b32 v4, v3, s61, 0xfedcba98 op_sel:[1,0]
	s_delay_alu instid0(VALU_DEP_1) | instskip(SKIP_4) | instid1(VALU_DEP_3)
	v_perm_b32 v87, v4, v3, v100
	v_perm_b32 v88, v4, v3, v101
	v_cvt_f16_f32_e32 v3, v9
	v_cvt_f16_f32_e32 v4, v10
	.loc	1 62 26                         ; attention_bwd.py:62:26 @[ attention_bwd.py:200:26 ]
	s_waitcnt lgkmcnt(0)
	v_wmma_f32_16x16x16_f16 v[209:216], v[110:117], v[81:88], v[209:216]
	s_delay_alu instid0(VALU_DEP_2) | instskip(NEXT) | instid1(VALU_DEP_1)
	.loc	1 61 21                         ; attention_bwd.py:61:21 @[ attention_bwd.py:200:26 ]
	v_pack_b32_f16 v3, v3, v4
	v_permlanex16_b32 v4, v3, s61, 0xfedcba98 op_sel:[1,0]
	s_delay_alu instid0(VALU_DEP_1) | instskip(SKIP_3) | instid1(VALU_DEP_1)
	v_perm_b32 v89, v4, v3, v100
	v_perm_b32 v90, v4, v3, v101
	v_cvt_f16_f32_e32 v3, v11
	v_cvt_f16_f32_e32 v4, v12
	v_pack_b32_f16 v3, v3, v4
	s_delay_alu instid0(VALU_DEP_1) | instskip(NEXT) | instid1(VALU_DEP_1)
	v_permlanex16_b32 v4, v3, s61, 0xfedcba98 op_sel:[1,0]
	v_perm_b32 v91, v4, v3, v100
	v_perm_b32 v92, v4, v3, v101
	v_cvt_f16_f32_e32 v3, v13
	v_cvt_f16_f32_e32 v4, v14
	s_delay_alu instid0(VALU_DEP_1) | instskip(NEXT) | instid1(VALU_DEP_1)
	v_pack_b32_f16 v3, v3, v4
	v_permlanex16_b32 v4, v3, s61, 0xfedcba98 op_sel:[1,0]
	s_delay_alu instid0(VALU_DEP_1)
	v_perm_b32 v93, v4, v3, v100
	v_perm_b32 v94, v4, v3, v101
	.loc	1 62 26                         ; attention_bwd.py:62:26 @[ attention_bwd.py:200:26 ]
	s_clause 0x1                            ; 32-byte Folded Reload
	scratch_load_b128 v[1:4], off, off
	scratch_load_b128 v[5:8], off, off offset:16
	v_wmma_f32_16x16x16_f16 v[241:248], v[110:117], v[89:96], v[241:248]
	.loc	1 58 21                         ; attention_bwd.py:58:21 @[ attention_bwd.py:200:26 ]
	ds_load_u16 v112, v253 offset:4640
	ds_load_u16 v110, v253 offset:4128
	;; [unrolled: 1-line block ×8, first 2 shown]
	s_waitcnt lgkmcnt(7)
	ds_load_u16_d16_hi v112, v253 offset:4768
	s_waitcnt lgkmcnt(7)
	ds_load_u16_d16_hi v110, v253 offset:4256
	;; [unrolled: 2-line block ×8, first 2 shown]
	.loc	1 62 26                         ; attention_bwd.py:62:26 @[ attention_bwd.py:200:26 ]
	s_waitcnt lgkmcnt(0)
	v_wmma_f32_16x16x16_f16 v[225:232], v[110:117], v[89:96], v[225:232]
	s_waitcnt vmcnt(0)
	v_wmma_f32_16x16x16_f16 v[1:8], v[110:117], v[81:88], v[1:8]
	s_clause 0x1                            ; 32-byte Folded Spill
	scratch_store_b128 off, v[1:4], off
	scratch_store_b128 off, v[5:8], off offset:16
	s_clause 0x1                            ; 32-byte Folded Reload
	scratch_load_b128 v[1:4], off, off offset:32
	scratch_load_b128 v[5:8], off, off offset:48
	.loc	1 58 21                         ; attention_bwd.py:58:21 @[ attention_bwd.py:200:26 ]
	ds_load_u16 v110, v253 offset:4160
	ds_load_u16 v112, v253 offset:4672
	;; [unrolled: 1-line block ×8, first 2 shown]
	s_waitcnt lgkmcnt(7)
	ds_load_u16_d16_hi v110, v253 offset:4288
	s_waitcnt lgkmcnt(7)
	ds_load_u16_d16_hi v112, v253 offset:4800
	;; [unrolled: 2-line block ×8, first 2 shown]
	.loc	1 62 26                         ; attention_bwd.py:62:26 @[ attention_bwd.py:200:26 ]
	s_waitcnt vmcnt(0) lgkmcnt(0)
	v_wmma_f32_16x16x16_f16 v[1:8], v[110:117], v[81:88], v[1:8]
	s_clause 0x1                            ; 32-byte Folded Spill
	scratch_store_b128 off, v[1:4], off offset:32
	scratch_store_b128 off, v[5:8], off offset:48
	s_clause 0x1                            ; 32-byte Folded Reload
	scratch_load_b128 v[1:4], off, off offset:96
	scratch_load_b128 v[5:8], off, off offset:112
	s_waitcnt vmcnt(0)
	v_wmma_f32_16x16x16_f16 v[1:8], v[110:117], v[89:96], v[1:8]
	s_clause 0x1                            ; 32-byte Folded Spill
	scratch_store_b128 off, v[1:4], off offset:96
	scratch_store_b128 off, v[5:8], off offset:112
	s_clause 0x1                            ; 32-byte Folded Reload
	scratch_load_b128 v[1:4], off, off offset:64
	scratch_load_b128 v[5:8], off, off offset:80
	.loc	1 58 21                         ; attention_bwd.py:58:21 @[ attention_bwd.py:200:26 ]
	ds_load_u16 v110, v253 offset:4192
	ds_load_u16 v111, v253 offset:4448
	;; [unrolled: 1-line block ×8, first 2 shown]
	s_waitcnt lgkmcnt(7)
	ds_load_u16_d16_hi v110, v253 offset:4320
	s_waitcnt lgkmcnt(7)
	ds_load_u16_d16_hi v111, v253 offset:4576
	;; [unrolled: 2-line block ×8, first 2 shown]
	.loc	1 62 26                         ; attention_bwd.py:62:26 @[ attention_bwd.py:200:26 ]
	s_waitcnt vmcnt(0) lgkmcnt(0)
	v_wmma_f32_16x16x16_f16 v[1:8], v[110:117], v[81:88], v[1:8]
	s_clause 0x1                            ; 32-byte Folded Spill
	scratch_store_b128 off, v[1:4], off offset:64
	scratch_store_b128 off, v[5:8], off offset:80
	s_clause 0x1                            ; 32-byte Folded Reload
	scratch_load_b128 v[1:4], off, off offset:128
	scratch_load_b128 v[5:8], off, off offset:144
	s_waitcnt vmcnt(0)
	v_wmma_f32_16x16x16_f16 v[1:8], v[110:117], v[89:96], v[1:8]
	s_clause 0x1                            ; 32-byte Folded Spill
	scratch_store_b128 off, v[1:4], off offset:128
	scratch_store_b128 off, v[5:8], off offset:144
	.loc	1 52 24                         ; attention_bwd.py:52:24 @[ attention_bwd.py:200:26 ]
	s_clause 0x1                            ; 32-byte Folded Reload
	scratch_load_b128 v[1:4], off, off offset:728
	scratch_load_b128 v[5:8], off, off offset:744
	.loc	1 66 24                         ; attention_bwd.py:66:24 @[ attention_bwd.py:200:26 ]
	ds_load_b128 v[81:84], v181 offset:6144
	ds_load_b128 v[85:88], v181 offset:6160
	;; [unrolled: 1-line block ×4, first 2 shown]
	s_waitcnt lgkmcnt(2)
	v_wmma_f32_16x16x16_f16 v[116:123], v[81:88], v[33:40], v[73:80]
	v_wmma_f32_16x16x16_f16 v[130:137], v[81:88], v[233:240], v[73:80]
	ds_load_b128 v[81:84], v181 offset:6208
	ds_load_b128 v[85:88], v181 offset:6224
	s_waitcnt lgkmcnt(2)
	v_wmma_f32_16x16x16_f16 v[116:123], v[89:96], v[25:32], v[116:123]
	v_wmma_f32_16x16x16_f16 v[130:137], v[89:96], v[17:24], v[130:137]
	s_waitcnt lgkmcnt(0)
	s_delay_alu instid0(VALU_DEP_2) | instskip(NEXT) | instid1(VALU_DEP_2)
	v_wmma_f32_16x16x16_f16 v[116:123], v[81:88], v[185:192], v[116:123]
	v_wmma_f32_16x16x16_f16 v[130:137], v[81:88], v[217:224], v[130:137]
	ds_load_b128 v[81:84], v181 offset:6240
	ds_load_b128 v[85:88], v181 offset:6256
	s_waitcnt lgkmcnt(0)
	v_wmma_f32_16x16x16_f16 v[116:123], v[81:88], v[153:160], v[116:123]
	v_wmma_f32_16x16x16_f16 v[130:137], v[81:88], v[161:168], v[130:137]
	.loc	1 48 21                         ; attention_bwd.py:48:21 @[ attention_bwd.py:200:26 ]
	ds_load_u16 v81, v253 offset:32
	ds_load_u16 v85, v253 offset:544
	;; [unrolled: 1-line block ×8, first 2 shown]
	s_waitcnt lgkmcnt(7)
	ds_load_u16_d16_hi v81, v253 offset:96
	s_waitcnt lgkmcnt(7)
	ds_load_u16_d16_hi v85, v253 offset:608
	;; [unrolled: 2-line block ×8, first 2 shown]
	v_dual_mov_b32 v161, v143 :: v_dual_sub_f32 v116, v116, v142
	v_dual_mov_b32 v143, v144 :: v_dual_sub_f32 v114, v118, v72
	.loc	1 67 26                         ; attention_bwd.py:67:26 @[ attention_bwd.py:200:26 ]
	v_dual_sub_f32 v117, v117, v141 :: v_dual_sub_f32 v112, v120, v70
	v_dual_sub_f32 v115, v119, v71 :: v_dual_sub_f32 v110, v122, v180
	v_sub_f32_e32 v113, v121, v69
	v_sub_f32_e32 v111, v123, v179
	v_dual_sub_f32 v95, v130, v142 :: v_dual_sub_f32 v94, v133, v71
	v_dual_sub_f32 v96, v131, v141 :: v_dual_sub_f32 v93, v132, v72
	;; [unrolled: 1-line block ×4, first 2 shown]
	v_mov_b32_e32 v144, v169
	.loc	1 52 24                         ; attention_bwd.py:52:24 @[ attention_bwd.py:200:26 ]
	s_waitcnt vmcnt(0) lgkmcnt(0)
	v_wmma_f32_16x16x16_f16 v[118:125], v[81:88], v[1:8], v[73:80]
	s_clause 0x1                            ; 32-byte Folded Reload
	scratch_load_b128 v[1:4], off, off offset:696
	scratch_load_b128 v[5:8], off, off offset:712
	s_waitcnt vmcnt(0)
	v_wmma_f32_16x16x16_f16 v[130:137], v[81:88], v[1:8], v[73:80]
	s_clause 0x1                            ; 32-byte Folded Reload
	scratch_load_b128 v[1:4], off, off offset:664
	scratch_load_b128 v[5:8], off, off offset:680
	.loc	1 48 21                         ; attention_bwd.py:48:21 @[ attention_bwd.py:200:26 ]
	ds_load_u16 v75, v253 offset:1312
	ds_load_u16 v74, v253 offset:1184
	ds_load_u16 v73, v253 offset:1056
	ds_load_u16 v80, v253 offset:1952
	ds_load_u16 v79, v253 offset:1824
	ds_load_u16 v78, v253 offset:1696
	ds_load_u16 v76, v253 offset:1440
	ds_load_u16 v77, v253 offset:1568
	s_waitcnt lgkmcnt(7)
	ds_load_u16_d16_hi v75, v253 offset:1376
	s_waitcnt lgkmcnt(7)
	ds_load_u16_d16_hi v74, v253 offset:1248
	s_waitcnt lgkmcnt(7)
	ds_load_u16_d16_hi v73, v253 offset:1120
	s_waitcnt lgkmcnt(7)
	ds_load_u16_d16_hi v80, v253 offset:2016
	s_waitcnt lgkmcnt(7)
	ds_load_u16_d16_hi v79, v253 offset:1888
	s_waitcnt lgkmcnt(7)
	ds_load_u16_d16_hi v78, v253 offset:1760
	s_waitcnt lgkmcnt(7)
	ds_load_u16_d16_hi v76, v253 offset:1504
	s_waitcnt lgkmcnt(7)
	ds_load_u16_d16_hi v77, v253 offset:1632
	.loc	1 52 24                         ; attention_bwd.py:52:24 @[ attention_bwd.py:200:26 ]
	s_waitcnt vmcnt(0) lgkmcnt(0)
	v_wmma_f32_16x16x16_f16 v[118:125], v[73:80], v[1:8], v[118:125]
	s_clause 0x1                            ; 32-byte Folded Reload
	scratch_load_b128 v[1:4], off, off offset:632
	scratch_load_b128 v[5:8], off, off offset:648
	s_waitcnt vmcnt(0)
	v_wmma_f32_16x16x16_f16 v[130:137], v[73:80], v[1:8], v[130:137]
	s_clause 0x1                            ; 32-byte Folded Reload
	scratch_load_b128 v[1:4], off, off offset:600
	scratch_load_b128 v[5:8], off, off offset:616
	.loc	1 48 21                         ; attention_bwd.py:48:21 @[ attention_bwd.py:200:26 ]
	ds_load_u16 v73, v253 offset:2080
	ds_load_u16 v79, v253 offset:2848
	ds_load_u16 v78, v253 offset:2720
	ds_load_u16 v77, v253 offset:2592
	ds_load_u16 v76, v253 offset:2464
	ds_load_u16 v74, v253 offset:2208
	ds_load_u16 v75, v253 offset:2336
	ds_load_u16 v80, v253 offset:2976
	s_waitcnt lgkmcnt(7)
	ds_load_u16_d16_hi v73, v253 offset:2144
	s_waitcnt lgkmcnt(7)
	ds_load_u16_d16_hi v79, v253 offset:2912
	s_waitcnt lgkmcnt(7)
	ds_load_u16_d16_hi v78, v253 offset:2784
	s_waitcnt lgkmcnt(7)
	ds_load_u16_d16_hi v77, v253 offset:2656
	s_waitcnt lgkmcnt(7)
	ds_load_u16_d16_hi v76, v253 offset:2528
	s_waitcnt lgkmcnt(7)
	ds_load_u16_d16_hi v74, v253 offset:2272
	s_waitcnt lgkmcnt(7)
	ds_load_u16_d16_hi v75, v253 offset:2400
	s_waitcnt lgkmcnt(7)
	ds_load_u16_d16_hi v80, v253 offset:3040
	;; [unrolled: 36-line block ×3, first 2 shown]
	.loc	1 52 24                         ; attention_bwd.py:52:24 @[ attention_bwd.py:200:26 ]
	s_waitcnt vmcnt(0) lgkmcnt(0)
	v_wmma_f32_16x16x16_f16 v[118:125], v[73:80], v[1:8], v[118:125]
	s_clause 0x1                            ; 32-byte Folded Reload
	scratch_load_b128 v[1:4], off, off offset:504
	scratch_load_b128 v[5:8], off, off offset:520
	s_waitcnt vmcnt(0)
	v_wmma_f32_16x16x16_f16 v[130:137], v[73:80], v[1:8], v[130:137]
	s_clause 0x5                            ; 24-byte Folded Reload
	scratch_load_b32 v2, off, off offset:240
	scratch_load_b32 v4, off, off offset:232
	;; [unrolled: 1-line block ×6, first 2 shown]
	v_mov_b32_e32 v1, v0
	.loc	1 53 32                         ; attention_bwd.py:53:32 @[ attention_bwd.py:200:26 ]
	v_dual_sub_f32 v11, v120, v41 :: v_dual_mov_b32 v0, v254
	v_sub_f32_e32 v3, v132, v41
	scratch_load_b32 v41, off, off offset:1032 ; 4-byte Folded Reload
	.loc	1 47 25                         ; attention_bwd.py:47:25 @[ attention_bwd.py:200:26 ]
	v_add_co_u32 v0, s30, v0, s66
	.loc	1 53 26                         ; attention_bwd.py:53:26 @[ attention_bwd.py:200:26 ]
	v_exp_f32_e32 v3, v3
	.loc	1 47 25                         ; attention_bwd.py:47:25 @[ attention_bwd.py:200:26 ]
	v_add_co_ci_u32_e64 v44, null, s67, v44, s30
	.loc	1 53 32                         ; attention_bwd.py:53:32 @[ attention_bwd.py:200:26 ]
	s_waitcnt vmcnt(6)
	v_sub_f32_e32 v10, v119, v2
	s_waitcnt vmcnt(4)
	v_dual_sub_f32 v12, v121, v4 :: v_dual_sub_f32 v13, v122, v5
	s_waitcnt vmcnt(2)
	v_dual_sub_f32 v14, v123, v6 :: v_dual_sub_f32 v15, v124, v7
	;; [unrolled: 2-line block ×3, first 2 shown]
	v_sub_f32_e32 v2, v131, v2
	v_sub_f32_e32 v4, v133, v4
	;; [unrolled: 1-line block ×4, first 2 shown]
	.loc	1 53 26 is_stmt 0               ; attention_bwd.py:53:26 @[ attention_bwd.py:200:26 ]
	v_exp_f32_e32 v9, v9
	v_exp_f32_e32 v11, v11
	;; [unrolled: 1-line block ×8, first 2 shown]
	.loc	1 53 32                         ; attention_bwd.py:53:32 @[ attention_bwd.py:200:26 ]
	v_sub_f32_e32 v1, v130, v1
	v_sub_f32_e32 v5, v134, v5
	.loc	1 68 21 is_stmt 1               ; attention_bwd.py:68:21 @[ attention_bwd.py:200:26 ]
	v_fma_mixlo_f16 v74, v9, v116, 0
	v_fma_mixlo_f16 v76, v11, v114, 0
	;; [unrolled: 1-line block ×4, first 2 shown]
	.loc	1 53 32                         ; attention_bwd.py:53:32 @[ attention_bwd.py:200:26 ]
	v_sub_f32_e32 v7, v136, v7
	.loc	1 68 21                         ; attention_bwd.py:68:21 @[ attention_bwd.py:200:26 ]
	v_fma_mixhi_f16 v74, v10, v117, 0
	v_fma_mixhi_f16 v76, v12, v115, 0
	v_fma_mixhi_f16 v78, v14, v113, 0
	v_fma_mixhi_f16 v80, v16, v111, 0
	.loc	1 53 26                         ; attention_bwd.py:53:26 @[ attention_bwd.py:200:26 ]
	v_exp_f32_e32 v1, v1
	.loc	1 68 21                         ; attention_bwd.py:68:21 @[ attention_bwd.py:200:26 ]
	v_permlanex16_b32 v75, v74, s61, 0xfedcba98 op_sel:[1,0]
	v_permlanex16_b32 v77, v76, s61, 0xfedcba98 op_sel:[1,0]
	;; [unrolled: 1-line block ×4, first 2 shown]
	.loc	1 53 26                         ; attention_bwd.py:53:26 @[ attention_bwd.py:200:26 ]
	v_exp_f32_e32 v5, v5
	.loc	1 68 21                         ; attention_bwd.py:68:21 @[ attention_bwd.py:200:26 ]
	v_perm_b32 v73, v75, v74, v100
	v_perm_b32 v74, v75, v74, v101
	;; [unrolled: 1-line block ×8, first 2 shown]
	.loc	1 69 26                         ; attention_bwd.py:69:26 @[ attention_bwd.py:200:26 ]
	ds_load_b128 v[81:84], v183 offset:32
	ds_load_b128 v[85:88], v183 offset:48
	;; [unrolled: 1-line block ×8, first 2 shown]
	.loc	1 53 26                         ; attention_bwd.py:53:26 @[ attention_bwd.py:200:26 ]
	v_exp_f32_e32 v7, v7
	v_exp_f32_e32 v2, v2
	v_exp_f32_e32 v4, v4
	v_exp_f32_e32 v6, v6
	v_exp_f32_e32 v8, v8
	.loc	1 61 21                         ; attention_bwd.py:61:21 @[ attention_bwd.py:200:26 ]
	v_cvt_f16_f32_e32 v9, v9
	v_cvt_f16_f32_e32 v10, v10
	s_delay_alu instid0(VALU_DEP_1)
	v_pack_b32_f16 v9, v9, v10
	.loc	1 69 26                         ; attention_bwd.py:69:26 @[ attention_bwd.py:200:26 ]
	s_waitcnt lgkmcnt(6)
	v_wmma_f32_16x16x16_f16 v[45:52], v[81:88], v[73:80], v[45:52]
	s_clause 0x1                            ; 32-byte Folded Spill
	scratch_store_b128 off, v[45:48], off offset:312
	scratch_store_b128 off, v[49:52], off offset:328
	s_waitcnt lgkmcnt(4)
	v_wmma_f32_16x16x16_f16 v[145:152], v[110:117], v[73:80], v[145:152]
	s_waitcnt lgkmcnt(2)
	v_wmma_f32_16x16x16_f16 v[61:68], v[118:125], v[73:80], v[61:68]
	;; [unrolled: 2-line block ×3, first 2 shown]
	.loc	1 68 21                         ; attention_bwd.py:68:21 @[ attention_bwd.py:200:26 ]
	v_fma_mixlo_f16 v74, v1, v95, 0
	v_fma_mixlo_f16 v76, v3, v93, 0
	;; [unrolled: 1-line block ×4, first 2 shown]
	.loc	1 61 21                         ; attention_bwd.py:61:21 @[ attention_bwd.py:200:26 ]
	v_cvt_f16_f32_e32 v1, v1
	.loc	1 68 21                         ; attention_bwd.py:68:21 @[ attention_bwd.py:200:26 ]
	v_fma_mixhi_f16 v74, v2, v96, 0
	v_fma_mixhi_f16 v76, v4, v94, 0
	;; [unrolled: 1-line block ×4, first 2 shown]
	.loc	1 61 21                         ; attention_bwd.py:61:21 @[ attention_bwd.py:200:26 ]
	v_cvt_f16_f32_e32 v2, v2
	.loc	1 68 21                         ; attention_bwd.py:68:21 @[ attention_bwd.py:200:26 ]
	v_permlanex16_b32 v75, v74, s61, 0xfedcba98 op_sel:[1,0]
	v_permlanex16_b32 v77, v76, s61, 0xfedcba98 op_sel:[1,0]
	;; [unrolled: 1-line block ×4, first 2 shown]
	.loc	1 61 21                         ; attention_bwd.py:61:21 @[ attention_bwd.py:200:26 ]
	v_pack_b32_f16 v1, v1, v2
	.loc	1 68 21                         ; attention_bwd.py:68:21 @[ attention_bwd.py:200:26 ]
	v_perm_b32 v73, v75, v74, v100
	v_perm_b32 v74, v75, v74, v101
	;; [unrolled: 1-line block ×8, first 2 shown]
	.loc	1 61 21                         ; attention_bwd.py:61:21 @[ attention_bwd.py:200:26 ]
	v_permlanex16_b32 v2, v1, s61, 0xfedcba98 op_sel:[1,0]
	v_permlanex16_b32 v10, v9, s61, 0xfedcba98 op_sel:[1,0]
	.loc	1 58 21                         ; attention_bwd.py:58:21 @[ attention_bwd.py:200:26 ]
	ds_load_u16 v89, v253 offset:6144
	ds_load_u16 v90, v253 offset:6400
	;; [unrolled: 1-line block ×8, first 2 shown]
	s_waitcnt lgkmcnt(7)
	ds_load_u16_d16_hi v89, v253 offset:6272
	s_waitcnt lgkmcnt(7)
	ds_load_u16_d16_hi v90, v253 offset:6528
	;; [unrolled: 2-line block ×8, first 2 shown]
	.loc	1 69 26                         ; attention_bwd.py:69:26 @[ attention_bwd.py:200:26 ]
	v_wmma_f32_16x16x16_f16 v[171:178], v[81:88], v[73:80], v[171:178]
	.loc	1 61 21                         ; attention_bwd.py:61:21 @[ attention_bwd.py:200:26 ]
	v_perm_b32 v81, v2, v1, v100
	v_perm_b32 v82, v2, v1, v101
	v_cvt_f16_f32_e32 v1, v3
	v_cvt_f16_f32_e32 v2, v4
	.loc	1 69 26                         ; attention_bwd.py:69:26 @[ attention_bwd.py:200:26 ]
	v_wmma_f32_16x16x16_f16 v[201:208], v[110:117], v[73:80], v[201:208]
	v_wmma_f32_16x16x16_f16 v[193:200], v[118:125], v[73:80], v[193:200]
	;; [unrolled: 1-line block ×3, first 2 shown]
	.loc	1 61 21                         ; attention_bwd.py:61:21 @[ attention_bwd.py:200:26 ]
	v_perm_b32 v73, v10, v9, v100
	v_pack_b32_f16 v1, v1, v2
	v_perm_b32 v74, v10, v9, v101
	v_cvt_f16_f32_e32 v9, v11
	v_cvt_f16_f32_e32 v10, v12
	s_clause 0x1                            ; 32-byte Folded Spill
	scratch_store_b128 off, v[145:148], off offset:280
	scratch_store_b128 off, v[149:152], off offset:296
	v_permlanex16_b32 v2, v1, s61, 0xfedcba98 op_sel:[1,0]
	s_clause 0x3                            ; 64-byte Folded Spill
	scratch_store_b128 off, v[61:64], off offset:408
	scratch_store_b128 off, v[65:68], off offset:424
	;; [unrolled: 1-line block ×4, first 2 shown]
	v_pack_b32_f16 v9, v9, v10
	s_clause 0x1                            ; 32-byte Folded Spill
	scratch_store_b128 off, v[171:174], off offset:472
	scratch_store_b128 off, v[175:178], off offset:488
	v_perm_b32 v83, v2, v1, v100
	v_perm_b32 v84, v2, v1, v101
	v_cvt_f16_f32_e32 v1, v5
	v_cvt_f16_f32_e32 v2, v6
	v_permlanex16_b32 v10, v9, s61, 0xfedcba98 op_sel:[1,0]
	s_clause 0x5                            ; 96-byte Folded Spill
	scratch_store_b128 off, v[201:204], off offset:376
	scratch_store_b128 off, v[205:208], off offset:392
	scratch_store_b128 off, v[193:196], off offset:344
	scratch_store_b128 off, v[197:200], off offset:360
	scratch_store_b128 off, v[102:105], off offset:248
	scratch_store_b128 off, v[106:109], off offset:264
	v_pack_b32_f16 v1, v1, v2
	v_perm_b32 v75, v10, v9, v100
	v_perm_b32 v76, v10, v9, v101
	v_cvt_f16_f32_e32 v9, v13
	v_cvt_f16_f32_e32 v10, v14
	v_permlanex16_b32 v2, v1, s61, 0xfedcba98 op_sel:[1,0]
	s_clause 0x4                            ; 20-byte Folded Reload
	scratch_load_b32 v104, off, off offset:928
	scratch_load_b32 v102, off, off offset:920
	;; [unrolled: 1-line block ×5, first 2 shown]
	v_pack_b32_f16 v9, v9, v10
	v_perm_b32 v85, v2, v1, v100
	v_perm_b32 v86, v2, v1, v101
	v_cvt_f16_f32_e32 v1, v7
	v_cvt_f16_f32_e32 v2, v8
	v_permlanex16_b32 v10, v9, s61, 0xfedcba98 op_sel:[1,0]
	s_clause 0x1                            ; 8-byte Folded Reload
	scratch_load_b32 v111, off, off offset:1024
	scratch_load_b32 v110, off, off offset:1020
	.loc	1 47 25                         ; attention_bwd.py:47:25 @[ attention_bwd.py:200:26 ]
	s_waitcnt vmcnt(7)
	v_add_co_ci_u32_e64 v41, null, s67, v41, s33
	.loc	1 61 21                         ; attention_bwd.py:61:21 @[ attention_bwd.py:200:26 ]
	v_pack_b32_f16 v1, v1, v2
	v_perm_b32 v77, v10, v9, v100
	v_perm_b32 v78, v10, v9, v101
	v_cvt_f16_f32_e32 v9, v15
	v_cvt_f16_f32_e32 v10, v16
	v_permlanex16_b32 v2, v1, s61, 0xfedcba98 op_sel:[1,0]
	s_delay_alu instid0(VALU_DEP_2) | instskip(NEXT) | instid1(VALU_DEP_2)
	v_pack_b32_f16 v9, v9, v10
	v_perm_b32 v87, v2, v1, v100
	v_perm_b32 v88, v2, v1, v101
	.loc	1 62 26                         ; attention_bwd.py:62:26 @[ attention_bwd.py:200:26 ]
	s_clause 0x1                            ; 32-byte Folded Reload
	scratch_load_b128 v[1:4], off, off
	scratch_load_b128 v[5:8], off, off offset:16
	.loc	1 61 21                         ; attention_bwd.py:61:21 @[ attention_bwd.py:200:26 ]
	v_permlanex16_b32 v10, v9, s61, 0xfedcba98 op_sel:[1,0]
	.loc	1 62 26                         ; attention_bwd.py:62:26 @[ attention_bwd.py:200:26 ]
	s_waitcnt lgkmcnt(0)
	v_wmma_f32_16x16x16_f16 v[241:248], v[89:96], v[81:88], v[241:248]
	s_clause 0x1                            ; 32-byte Folded Spill
	scratch_store_b128 off, v[241:244], off offset:760
	scratch_store_b128 off, v[245:248], off offset:776
	.loc	1 61 21                         ; attention_bwd.py:61:21 @[ attention_bwd.py:200:26 ]
	v_perm_b32 v79, v10, v9, v100
	v_perm_b32 v80, v10, v9, v101
	s_delay_alu instid0(VALU_DEP_1)
	.loc	1 62 26                         ; attention_bwd.py:62:26 @[ attention_bwd.py:200:26 ]
	v_wmma_f32_16x16x16_f16 v[209:216], v[89:96], v[73:80], v[209:216]
	.loc	1 58 21                         ; attention_bwd.py:58:21 @[ attention_bwd.py:200:26 ]
	ds_load_u16 v89, v253 offset:6176
	ds_load_u16 v90, v253 offset:6432
	;; [unrolled: 1-line block ×8, first 2 shown]
	s_waitcnt lgkmcnt(7)
	ds_load_u16_d16_hi v89, v253 offset:6304
	s_waitcnt lgkmcnt(7)
	ds_load_u16_d16_hi v90, v253 offset:6560
	;; [unrolled: 2-line block ×8, first 2 shown]
	s_clause 0x1                            ; 32-byte Folded Spill
	scratch_store_b128 off, v[209:212], off offset:824
	scratch_store_b128 off, v[213:216], off offset:840
	.loc	1 62 26                         ; attention_bwd.py:62:26 @[ attention_bwd.py:200:26 ]
	s_waitcnt lgkmcnt(0)
	v_wmma_f32_16x16x16_f16 v[225:232], v[89:96], v[81:88], v[225:232]
	s_clause 0x1                            ; 32-byte Folded Spill
	scratch_store_b128 off, v[225:228], off offset:792
	scratch_store_b128 off, v[229:232], off offset:808
	.loc	1 47 25                         ; attention_bwd.py:47:25 @[ attention_bwd.py:200:26 ]
	s_waitcnt vmcnt(2)
	v_add_co_u32 v110, s25, v110, s66
	s_delay_alu instid0(VALU_DEP_1)
	v_add_co_ci_u32_e64 v111, null, s67, v111, s25
	.loc	1 62 26                         ; attention_bwd.py:62:26 @[ attention_bwd.py:200:26 ]
	s_waitcnt vmcnt(0)
	v_wmma_f32_16x16x16_f16 v[1:8], v[89:96], v[73:80], v[1:8]
	s_clause 0x1                            ; 32-byte Folded Spill
	scratch_store_b128 off, v[1:4], off
	scratch_store_b128 off, v[5:8], off offset:16
	s_clause 0x1                            ; 32-byte Folded Reload
	scratch_load_b128 v[1:4], off, off offset:32
	scratch_load_b128 v[5:8], off, off offset:48
	.loc	1 58 21                         ; attention_bwd.py:58:21 @[ attention_bwd.py:200:26 ]
	ds_load_u16 v89, v253 offset:6208
	ds_load_u16 v90, v253 offset:6464
	;; [unrolled: 1-line block ×8, first 2 shown]
	s_waitcnt lgkmcnt(7)
	ds_load_u16_d16_hi v89, v253 offset:6336
	s_waitcnt lgkmcnt(7)
	ds_load_u16_d16_hi v90, v253 offset:6592
	;; [unrolled: 2-line block ×8, first 2 shown]
	.loc	1 62 26                         ; attention_bwd.py:62:26 @[ attention_bwd.py:200:26 ]
	s_waitcnt vmcnt(0) lgkmcnt(0)
	v_wmma_f32_16x16x16_f16 v[1:8], v[89:96], v[73:80], v[1:8]
	s_clause 0x1                            ; 32-byte Folded Spill
	scratch_store_b128 off, v[1:4], off offset:32
	scratch_store_b128 off, v[5:8], off offset:48
	s_clause 0x1                            ; 32-byte Folded Reload
	scratch_load_b128 v[1:4], off, off offset:96
	scratch_load_b128 v[5:8], off, off offset:112
	s_waitcnt vmcnt(0)
	v_wmma_f32_16x16x16_f16 v[1:8], v[89:96], v[81:88], v[1:8]
	s_clause 0x1                            ; 32-byte Folded Spill
	scratch_store_b128 off, v[1:4], off offset:96
	scratch_store_b128 off, v[5:8], off offset:112
	s_clause 0x1                            ; 32-byte Folded Reload
	scratch_load_b128 v[1:4], off, off offset:64
	scratch_load_b128 v[5:8], off, off offset:80
	.loc	1 58 21                         ; attention_bwd.py:58:21 @[ attention_bwd.py:200:26 ]
	ds_load_u16 v89, v253 offset:6240
	ds_load_u16 v90, v253 offset:6496
	;; [unrolled: 1-line block ×8, first 2 shown]
	s_waitcnt lgkmcnt(7)
	ds_load_u16_d16_hi v89, v253 offset:6368
	s_waitcnt lgkmcnt(7)
	ds_load_u16_d16_hi v90, v253 offset:6624
	;; [unrolled: 2-line block ×8, first 2 shown]
	.loc	1 62 26                         ; attention_bwd.py:62:26 @[ attention_bwd.py:200:26 ]
	s_waitcnt vmcnt(0) lgkmcnt(0)
	v_wmma_f32_16x16x16_f16 v[1:8], v[89:96], v[73:80], v[1:8]
	s_clause 0x1                            ; 32-byte Folded Spill
	scratch_store_b128 off, v[1:4], off offset:64
	scratch_store_b128 off, v[5:8], off offset:80
	s_clause 0x7                            ; 56-byte Folded Reload
	scratch_load_b32 v80, off, off offset:952
	scratch_load_b32 v79, off, off offset:948
	;; [unrolled: 1-line block ×6, first 2 shown]
	scratch_load_b128 v[1:4], off, off offset:128
	scratch_load_b128 v[5:8], off, off offset:144
	.loc	1 73 19                         ; attention_bwd.py:73:19 @[ attention_bwd.py:200:26 ]
	v_add_co_u32 v73, vcc_lo, v144, s52
	s_delay_alu instid0(VALU_DEP_1) | instskip(SKIP_1) | instid1(VALU_DEP_1)
	v_add_co_ci_u32_e64 v74, null, s53, v170, vcc_lo
	.loc	1 47 25                         ; attention_bwd.py:47:25 @[ attention_bwd.py:200:26 ]
	v_add_co_u32 v144, s17, v144, s66
	v_add_co_ci_u32_e64 v170, null, s67, v170, s17
	.loc	1 62 26                         ; attention_bwd.py:62:26 @[ attention_bwd.py:200:26 ]
	s_waitcnt vmcnt(0)
	v_wmma_f32_16x16x16_f16 v[1:8], v[89:96], v[81:88], v[1:8]
	s_clause 0x1                            ; 32-byte Folded Spill
	scratch_store_b128 off, v[1:4], off offset:128
	scratch_store_b128 off, v[5:8], off offset:144
	.loc	1 58 21                         ; attention_bwd.py:58:21 @[ attention_bwd.py:200:26 ]
	global_load_u16 v1, v[73:74], off
	.loc	1 73 19                         ; attention_bwd.py:73:19 @[ attention_bwd.py:200:26 ]
	v_add_co_u32 v73, vcc_lo, v161, s52
	s_delay_alu instid0(VALU_DEP_1)
	v_add_co_ci_u32_e64 v74, null, s53, v143, vcc_lo
	.loc	1 58 21                         ; attention_bwd.py:58:21 @[ attention_bwd.py:200:26 ]
	global_load_u16 v2, v[73:74], off
	s_clause 0x8                            ; 36-byte Folded Reload
	scratch_load_b32 v103, off, off offset:924
	scratch_load_b32 v95, off, off offset:912
	;; [unrolled: 1-line block ×9, first 2 shown]
	.loc	1 47 25                         ; attention_bwd.py:47:25 @[ attention_bwd.py:200:26 ]
	v_add_co_u32 v161, s16, v161, s66
	s_delay_alu instid0(VALU_DEP_1) | instskip(SKIP_2) | instid1(VALU_DEP_1)
	v_add_co_ci_u32_e64 v143, null, s67, v143, s16
	.loc	1 73 19                         ; attention_bwd.py:73:19 @[ attention_bwd.py:200:26 ]
	s_waitcnt vmcnt(8)
	v_add_co_u32 v73, vcc_lo, v103, s52
	v_add_co_ci_u32_e64 v74, null, s53, v104, vcc_lo
	.loc	1 58 21                         ; attention_bwd.py:58:21 @[ attention_bwd.py:200:26 ]
	global_load_u16 v3, v[73:74], off
	scratch_load_b32 v96, off, off offset:916 ; 4-byte Folded Reload
	.loc	1 47 25                         ; attention_bwd.py:47:25 @[ attention_bwd.py:200:26 ]
	v_add_co_u32 v103, s15, v103, s66
	s_delay_alu instid0(VALU_DEP_1) | instskip(SKIP_2) | instid1(VALU_DEP_1)
	v_add_co_ci_u32_e64 v104, null, s67, v104, s15
	.loc	1 73 19                         ; attention_bwd.py:73:19 @[ attention_bwd.py:200:26 ]
	s_waitcnt vmcnt(0)
	v_add_co_u32 v73, vcc_lo, v96, s52
	v_add_co_ci_u32_e64 v74, null, s53, v102, vcc_lo
	.loc	1 58 21                         ; attention_bwd.py:58:21 @[ attention_bwd.py:200:26 ]
	global_load_u16 v4, v[73:74], off
	scratch_load_b32 v94, off, off offset:908 ; 4-byte Folded Reload
	;; [unrolled: 11-line block ×8, first 2 shown]
	.loc	1 47 25                         ; attention_bwd.py:47:25 @[ attention_bwd.py:200:26 ]
	v_add_co_u32 v84, s8, v84, s66
	s_delay_alu instid0(VALU_DEP_1) | instskip(SKIP_2) | instid1(VALU_DEP_1)
	v_add_co_ci_u32_e64 v85, null, s67, v85, s8
	.loc	1 73 19                         ; attention_bwd.py:73:19 @[ attention_bwd.py:200:26 ]
	s_waitcnt vmcnt(0)
	v_add_co_u32 v73, vcc_lo, v82, s52
	v_add_co_ci_u32_e64 v74, null, s53, v83, vcc_lo
	.loc	1 47 25                         ; attention_bwd.py:47:25 @[ attention_bwd.py:200:26 ]
	v_add_co_u32 v82, s7, v82, s66
	s_delay_alu instid0(VALU_DEP_1) | instskip(SKIP_2) | instid1(VALU_DEP_1)
	v_add_co_ci_u32_e64 v83, null, s67, v83, s7
	.loc	1 58 21                         ; attention_bwd.py:58:21 @[ attention_bwd.py:200:26 ]
	global_load_u16 v11, v[73:74], off
	.loc	1 73 19                         ; attention_bwd.py:73:19 @[ attention_bwd.py:200:26 ]
	v_add_co_u32 v73, vcc_lo, v124, s52
	v_add_co_ci_u32_e64 v74, null, s53, v81, vcc_lo
	.loc	1 47 25                         ; attention_bwd.py:47:25 @[ attention_bwd.py:200:26 ]
	v_add_co_u32 v124, s6, v124, s66
	s_delay_alu instid0(VALU_DEP_1) | instskip(SKIP_2) | instid1(VALU_DEP_1)
	v_add_co_ci_u32_e64 v81, null, s67, v81, s6
	.loc	1 58 21                         ; attention_bwd.py:58:21 @[ attention_bwd.py:200:26 ]
	global_load_u16 v12, v[73:74], off
	.loc	1 73 19                         ; attention_bwd.py:73:19 @[ attention_bwd.py:200:26 ]
	;; [unrolled: 9-line block ×4, first 2 shown]
	v_add_co_u32 v73, vcc_lo, v77, s52
	v_add_co_ci_u32_e64 v74, null, s53, v78, vcc_lo
	.loc	1 58 21                         ; attention_bwd.py:58:21 @[ attention_bwd.py:200:26 ]
	global_load_u16 v15, v[73:74], off
	.loc	1 48 21                         ; attention_bwd.py:48:21 @[ attention_bwd.py:200:26 ]
	v_add_co_u32 v73, vcc_lo, v75, s52
	s_delay_alu instid0(VALU_DEP_1) | instskip(SKIP_3) | instid1(VALU_DEP_1)
	v_add_co_ci_u32_e64 v74, null, s53, v76, vcc_lo
	.loc	1 58 21                         ; attention_bwd.py:58:21 @[ attention_bwd.py:200:26 ]
	global_load_u16 v16, v[73:74], off
	scratch_load_b32 v61, off, off offset:1120 ; 4-byte Folded Reload
	.loc	1 47 25                         ; attention_bwd.py:47:25 @[ attention_bwd.py:200:26 ]
	v_add_co_u32 v75, vcc_lo, v75, s66
	v_add_co_ci_u32_e64 v76, null, s67, v76, vcc_lo
	.loc	1 51 24                         ; attention_bwd.py:51:24 @[ attention_bwd.py:200:26 ]
	s_waitcnt vmcnt(0)
	v_add_co_u32 v73, s3, s68, v61
	s_delay_alu instid0(VALU_DEP_1)
	v_add_co_ci_u32_e64 v74, null, s69, 0, s3
	.loc	1 51 20 is_stmt 0               ; attention_bwd.py:51:20 @[ attention_bwd.py:200:26 ]
	s_clause 0xf
	global_load_b32 v137, v[73:74], off offset:128
	global_load_b32 v130, v[73:74], off offset:136
	;; [unrolled: 1-line block ×16, first 2 shown]
	.loc	1 64 25 is_stmt 1               ; attention_bwd.py:64:25 @[ attention_bwd.py:200:26 ]
	v_add_co_u32 v73, s3, s48, v61
	s_delay_alu instid0(VALU_DEP_1)
	v_add_co_ci_u32_e64 v74, null, s49, 0, s3
	.loc	1 64 21 is_stmt 0               ; attention_bwd.py:64:21 @[ attention_bwd.py:200:26 ]
	s_clause 0xf
	global_load_b32 v97, v[73:74], off offset:128
	global_load_b32 v254, v[73:74], off offset:136
	;; [unrolled: 1-line block ×16, first 2 shown]
	.loc	1 47 25 is_stmt 1               ; attention_bwd.py:47:25 @[ attention_bwd.py:200:26 ]
	s_add_u32 s68, s68, 0x80
	v_add_co_u32 v77, s3, v77, s66
	s_addc_u32 s69, s69, 0
	v_add_co_ci_u32_e64 v78, null, s67, v78, s3
	s_add_u32 s48, s48, 0x80
	s_addc_u32 s49, s49, 0
	s_add_i32 s95, s95, -1
	s_delay_alu instid0(SALU_CYCLE_1)
	s_cmp_lg_u32 s95, 0
	.loc	1 48 21                         ; attention_bwd.py:48:21 @[ attention_bwd.py:200:26 ]
	s_waitcnt vmcnt(0)
	s_waitcnt_vscnt null, 0x0
	s_barrier
	buffer_gl0_inv
	s_clause 0x1                            ; 8-byte Folded Reload
	scratch_load_b32 v17, off, off offset:1052
	scratch_load_b32 v25, off, off offset:1048
	s_clause 0x12                           ; 76-byte Folded Spill
	scratch_store_b32 off, v90, off offset:892
	scratch_store_b32 off, v92, off offset:900
	;; [unrolled: 1-line block ×19, first 2 shown]
	.loc	1 58 21                         ; attention_bwd.py:58:21 @[ attention_bwd.py:200:26 ]
	ds_store_b16 v255, v4 offset:4864
	ds_store_b16 v255, v5 offset:5120
	scratch_load_b32 v5, off, off offset:968 ; 4-byte Folded Reload
	ds_store_b16 v255, v6 offset:5376
	scratch_load_b32 v6, off, off offset:972 ; 4-byte Folded Reload
	;; [unrolled: 2-line block ×8, first 2 shown]
	ds_store_b16 v255, v13 offset:7168
	s_clause 0x3                            ; 16-byte Folded Reload
	scratch_load_b32 v13, off, off offset:1000
	scratch_load_b32 v4, off, off offset:1040
	;; [unrolled: 1-line block ×4, first 2 shown]
	ds_store_b16 v255, v14 offset:7424
	scratch_load_b32 v14, off, off offset:1004 ; 4-byte Folded Reload
	ds_store_b16 v255, v15 offset:7680
	scratch_load_b32 v15, off, off offset:1008 ; 4-byte Folded Reload
	;; [unrolled: 2-line block ×3, first 2 shown]
	.loc	1 48 21                         ; attention_bwd.py:48:21 @[ attention_bwd.py:200:26 ]
	s_waitcnt vmcnt(16)
	ds_store_b16 v255, v17
	scratch_load_b32 v17, off, off offset:1056 ; 4-byte Folded Reload
	.loc	1 47 25                         ; attention_bwd.py:47:25 @[ attention_bwd.py:200:26 ]
	s_waitcnt vmcnt(15)
	v_add_co_u32 v5, s18, v5, s66
	s_waitcnt vmcnt(14)
	v_add_co_ci_u32_e64 v6, null, s67, v6, s18
	s_waitcnt vmcnt(13)
	v_add_co_u32 v7, s19, v7, s66
	s_waitcnt vmcnt(12)
	v_add_co_ci_u32_e64 v8, null, s67, v8, s19
	;; [unrolled: 4-line block ×4, first 2 shown]
	s_waitcnt vmcnt(7)
	v_add_co_u32 v13, s22, v13, s66
	s_waitcnt vmcnt(5)
	v_add_co_u32 v96, s26, v96, s66
	s_waitcnt vmcnt(4)
	v_add_co_ci_u32_e64 v104, null, s67, v104, s24
	s_waitcnt vmcnt(3)
	v_add_co_ci_u32_e64 v14, null, s67, v14, s22
	s_waitcnt vmcnt(2)
	v_add_co_u32 v15, s23, v15, s66
	s_waitcnt vmcnt(1)
	v_add_co_ci_u32_e64 v16, null, s67, v16, s23
	.loc	1 48 21                         ; attention_bwd.py:48:21 @[ attention_bwd.py:200:26 ]
	s_waitcnt vmcnt(0)
	ds_store_b16 v255, v17 offset:256
	scratch_load_b32 v17, off, off offset:1060 ; 4-byte Folded Reload
	s_waitcnt vmcnt(0)
	ds_store_b16 v255, v17 offset:512
	scratch_load_b32 v17, off, off offset:1064 ; 4-byte Folded Reload
	;; [unrolled: 3-line block ×14, first 2 shown]
	s_waitcnt vmcnt(0)
	ds_store_b16 v255, v17 offset:3840
	.loc	1 58 21                         ; attention_bwd.py:58:21 @[ attention_bwd.py:200:26 ]
	ds_store_b16 v255, v1 offset:4096
	ds_store_b16 v255, v2 offset:4352
	;; [unrolled: 1-line block ×3, first 2 shown]
	s_clause 0x1                            ; 8-byte Folded Reload
	scratch_load_b32 v3, off, off offset:1036
	scratch_load_b32 v2, off, off offset:1044
	.loc	1 47 25                         ; attention_bwd.py:47:25 @[ attention_bwd.py:200:26 ]
	v_add_co_u32 v25, s28, v25, s66
	s_delay_alu instid0(VALU_DEP_1)
	v_add_co_ci_u32_e64 v182, null, s67, v182, s28
	s_waitcnt vmcnt(1)
	v_add_co_u32 v3, s34, v3, s66
	s_waitcnt vmcnt(0)
	v_add_co_ci_u32_e64 v2, null, s67, v2, s26
	v_add_co_ci_u32_e64 v4, null, s67, v4, s34
	s_cbranch_scc1 .LBB0_68
; %bb.69:                               ; %Flow1689
	.loc	1 0 25 is_stmt 0                ; attention_bwd.py:0:25
	s_clause 0xe                            ; 60-byte Folded Spill
	scratch_store_b32 off, v20, off offset:240
	scratch_store_b32 off, v23, off offset:1288
	;; [unrolled: 1-line block ×15, first 2 shown]
	s_clause 0x1f                           ; 188-byte Folded Reload
	scratch_load_b32 v75, off, off offset:2644
	scratch_load_b32 v76, off, off offset:2652
	scratch_load_b32 v77, off, off offset:2660
	scratch_load_b32 v78, off, off offset:2668
	scratch_load_b32 v79, off, off offset:2676
	scratch_load_b32 v253, off, off offset:2684
	scratch_load_b32 v108, off, off offset:2692
	scratch_load_b32 v109, off, off offset:2700
	scratch_load_b32 v63, off, off offset:2708
	scratch_load_b32 v60, off, off offset:2716
	scratch_load_b32 v62, off, off offset:2724
	scratch_load_b32 v59, off, off offset:2732
	scratch_load_b32 v61, off, off offset:2740
	scratch_load_b32 v58, off, off offset:2748
	scratch_load_b32 v52, off, off offset:2756
	scratch_load_b32 v50, off, off offset:2764
	scratch_load_b32 v51, off, off offset:2772
	scratch_load_b32 v48, off, off offset:2776
	scratch_load_b32 v49, off, off offset:2780
	scratch_load_b32 v47, off, off offset:2784
	scratch_load_b32 v46, off, off offset:2788
	scratch_load_b32 v45, off, off offset:2792
	scratch_load_b32 v56, off, off offset:2796
	scratch_load_b32 v57, off, off offset:2800
	scratch_load_b32 v55, off, off offset:2804
	scratch_load_b32 v54, off, off offset:2808
	scratch_load_b32 v53, off, off offset:2812
	scratch_load_b128 v[29:32], off, off
	scratch_load_b128 v[33:36], off, off offset:16
	scratch_load_b128 v[209:212], off, off offset:32
	;; [unrolled: 1-line block ×4, first 2 shown]
	s_clause 0xa                            ; 176-byte Folded Reload
	scratch_load_b128 v[229:232], off, off offset:80
	scratch_load_b128 v[153:156], off, off offset:760
	;; [unrolled: 1-line block ×11, first 2 shown]
	s_branch .LBB0_71
.LBB0_70:
	v_mov_b32_e32 v184, v185
	v_mov_b32_e32 v183, v185
	;; [unrolled: 1-line block ×72, first 2 shown]
	s_clause 0x10                           ; 260-byte Folded Spill
	scratch_store_b128 off, v[1:4], off offset:248
	scratch_store_b128 off, v[5:8], off offset:264
	;; [unrolled: 1-line block ×16, first 2 shown]
	scratch_store_b32 off, v0, off offset:2516
.LBB0_71:                               ; %Flow1691
	s_clause 0x6                            ; 28-byte Folded Spill
	scratch_store_b32 off, v254, off offset:856
	scratch_store_b32 off, v250, off offset:824
	;; [unrolled: 1-line block ×7, first 2 shown]
	.loc	1 69 26 is_stmt 1               ; attention_bwd.py:69:26 @[ attention_bwd.py:200:26 ]
	s_waitcnt vmcnt(0) lgkmcnt(0)
	s_waitcnt_vscnt null, 0x0
	s_clause 0x5                            ; 24-byte Folded Reload
	scratch_load_b32 v16, off, off offset:1468
	scratch_load_b32 v6, off, off offset:2524
	;; [unrolled: 1-line block ×6, first 2 shown]
	s_load_b32 s0, s[0:1], 0x18
	v_add_nc_u32_e32 v53, 0, v53
	v_dual_mov_b32 v233, 0 :: v_dual_add_nc_u32 v54, 0, v54
	v_add_nc_u32_e32 v55, 0, v55
	v_add_nc_u32_e32 v57, 0, v57
	;; [unrolled: 1-line block ×20, first 2 shown]
	.loc	1 52 24                         ; attention_bwd.py:52:24 @[ attention_bwd.py:200:26 ]
	s_and_b32 vcc_lo, exec_lo, s2
	.loc	1 69 26                         ; attention_bwd.py:69:26 @[ attention_bwd.py:200:26 ]
	s_mov_b32 s4, 0
	scratch_load_b32 v17, off, off offset:1432 ; 4-byte Folded Reload
	v_mov_b32_e32 v98, 0
	scratch_load_b32 v18, off, off offset:1400 ; 4-byte Folded Reload
	v_mov_b32_e32 v99, 0
	;; [unrolled: 2-line block ×3, first 2 shown]
	scratch_load_b32 v20, off, off offset:1388 ; 4-byte Folded Reload
	v_dual_mov_b32 v102, 0 :: v_dual_mov_b32 v101, 0
	v_dual_mov_b32 v103, 0 :: v_dual_mov_b32 v104, 0
	;; [unrolled: 1-line block ×3, first 2 shown]
	v_mov_b32_e32 v95, 0
	v_mov_b32_e32 v105, 0
	;; [unrolled: 1-line block ×3, first 2 shown]
	scratch_load_b32 v64, off, off offset:1308 ; 4-byte Folded Reload
	v_dual_mov_b32 v83, 0 :: v_dual_mov_b32 v82, 0
	v_mov_b32_e32 v84, 0
	v_mov_b32_e32 v86, 0
	v_dual_mov_b32 v88, 0 :: v_dual_mov_b32 v85, 0
	v_mov_b32_e32 v90, 0
	v_mov_b32_e32 v92, 0
	v_dual_mov_b32 v94, 0 :: v_dual_mov_b32 v87, 0
	v_mov_b32_e32 v89, 0
	v_mov_b32_e32 v91, 0
	v_dual_mov_b32 v93, 0 :: v_dual_mov_b32 v96, 0
	s_waitcnt vmcnt(10)
	v_add_nc_u32_e32 v127, 0, v16
	scratch_load_b32 v16, off, off offset:1464 ; 4-byte Folded Reload
	s_waitcnt vmcnt(2)
	v_add_nc_u32_e32 v166, 0, v20
	scratch_load_b32 v20, off, off offset:1384 ; 4-byte Folded Reload
	s_waitcnt vmcnt(2)
	v_add_nc_u32_e32 v162, 0, v64
	scratch_load_b32 v64, off, off offset:1304 ; 4-byte Folded Reload
	s_waitcnt vmcnt(2)
	v_add_nc_u32_e32 v142, 0, v16
	scratch_load_b32 v16, off, off offset:1460 ; 4-byte Folded Reload
	s_waitcnt vmcnt(2)
	v_add_nc_u32_e32 v171, 0, v20
	scratch_load_b32 v20, off, off offset:1380 ; 4-byte Folded Reload
	s_waitcnt vmcnt(2)
	v_add_nc_u32_e32 v64, 0, v64
	s_waitcnt vmcnt(1)
	v_add_nc_u32_e32 v141, 0, v16
	scratch_load_b32 v16, off, off offset:1456 ; 4-byte Folded Reload
	s_waitcnt vmcnt(1)
	v_add_nc_u32_e32 v168, 0, v20
	scratch_load_b32 v20, off, off offset:1376 ; 4-byte Folded Reload
	v_add_nc_u32_e32 v138, 0, v17
	scratch_load_b32 v17, off, off offset:1428 ; 4-byte Folded Reload
	s_waitcnt vmcnt(2)
	v_add_nc_u32_e32 v139, 0, v16
	scratch_load_b32 v16, off, off offset:1452 ; 4-byte Folded Reload
	s_waitcnt vmcnt(2)
	;; [unrolled: 3-line block ×11, first 2 shown]
	v_add_nc_u32_e32 v170, 0, v20
	scratch_load_b32 v20, off, off offset:1140 ; 4-byte Folded Reload
	v_add_nc_u32_e32 v249, 0, v18
	scratch_load_b32 v18, off, off offset:1396 ; 4-byte Folded Reload
	s_waitcnt vmcnt(1)
	v_add_nc_u32_e32 v74, 0, v20
	scratch_load_b32 v20, off, off offset:1172 ; 4-byte Folded Reload
	v_add_nc_u32_e32 v106, 0, v17
	scratch_load_b32 v17, off, off offset:1412 ; 4-byte Folded Reload
	scratch_store_b32 off, v74, off offset:1140 ; 4-byte Folded Spill
	s_waitcnt vmcnt(1)
	v_add_nc_u32_e32 v74, 0, v20
	scratch_load_b32 v20, off, off offset:1160 ; 4-byte Folded Reload
	s_waitcnt vmcnt(1)
	v_add_nc_u32_e32 v143, 0, v17
	scratch_load_b32 v17, off, off offset:1408 ; 4-byte Folded Reload
	scratch_store_b32 off, v74, off offset:1172 ; 4-byte Folded Spill
	s_waitcnt vmcnt(1)
	v_add_nc_u32_e32 v74, 0, v20
	scratch_load_b32 v20, off, off offset:1156 ; 4-byte Folded Reload
	s_waitcnt vmcnt(1)
	v_add_nc_u32_e32 v126, 0, v17
	scratch_load_b32 v17, off, off offset:1404 ; 4-byte Folded Reload
	scratch_store_b32 off, v74, off offset:1160 ; 4-byte Folded Spill
	s_waitcnt vmcnt(1)
	v_add_nc_u32_e32 v74, 0, v20
	scratch_load_b32 v20, off, off offset:1164 ; 4-byte Folded Reload
	v_add_nc_u32_e32 v129, 0, v16
	scratch_load_b32 v16, off, off offset:1436 ; 4-byte Folded Reload
	scratch_store_b32 off, v74, off offset:1156 ; 4-byte Folded Spill
	s_waitcnt vmcnt(1)
	v_add_nc_u32_e32 v74, 0, v20
	scratch_load_b32 v20, off, off offset:1144 ; 4-byte Folded Reload
	v_add_nc_u32_e32 v17, 0, v17
	scratch_store_b32 off, v74, off offset:1164 ; 4-byte Folded Spill
	s_waitcnt vmcnt(0)
	v_add_nc_u32_e32 v74, 0, v20
	scratch_load_b32 v20, off, off offset:1168 ; 4-byte Folded Reload
	v_add_nc_u32_e32 v12, 0, v6
	scratch_load_b32 v6, off, off offset:1472 ; 4-byte Folded Reload
	scratch_store_b32 off, v74, off offset:1144 ; 4-byte Folded Spill
	s_waitcnt vmcnt(1)
	v_add_nc_u32_e32 v74, 0, v20
	scratch_load_b32 v20, off, off offset:1148 ; 4-byte Folded Reload
	v_add_nc_u32_e32 v16, 0, v16
	scratch_store_b32 off, v74, off offset:1168 ; 4-byte Folded Spill
	s_waitcnt vmcnt(0)
	v_add_nc_u32_e32 v74, 0, v20
	scratch_load_b32 v20, off, off offset:1360 ; 4-byte Folded Reload
	scratch_store_b32 off, v74, off offset:1148 ; 4-byte Folded Spill
	s_waitcnt vmcnt(0)
	v_add_nc_u32_e32 v74, 0, v20
	scratch_load_b32 v20, off, off offset:1152 ; 4-byte Folded Reload
	v_add_nc_u32_e32 v6, 0, v6
	scratch_store_b32 off, v74, off offset:1116 ; 4-byte Folded Spill
	s_waitcnt vmcnt(0)
	v_add_nc_u32_e32 v74, 0, v20
	scratch_load_b32 v20, off, off offset:1128 ; 4-byte Folded Reload
	scratch_store_b32 off, v74, off offset:1152 ; 4-byte Folded Spill
	s_waitcnt vmcnt(0)
	v_add_nc_u32_e32 v74, 0, v20
	scratch_load_b32 v20, off, off offset:1356 ; 4-byte Folded Reload
	;; [unrolled: 4-line block ×3, first 2 shown]
	v_add_nc_u32_e32 v19, 0, v19
	s_waitcnt vmcnt(0)
	v_add_nc_u32_e32 v74, 0, v20
	scratch_load_b32 v20, off, off offset:1352 ; 4-byte Folded Reload
	scratch_store_b32 off, v74, off offset:1132 ; 4-byte Folded Spill
	s_waitcnt vmcnt(0)
	v_add_nc_u32_e32 v74, 0, v20
	scratch_load_b32 v20, off, off offset:1136 ; 4-byte Folded Reload
	v_add_nc_u32_e32 v18, 0, v18
	scratch_store_b32 off, v74, off offset:1120 ; 4-byte Folded Spill
	s_waitcnt vmcnt(0)
	v_add_nc_u32_e32 v74, 0, v20
	scratch_load_b32 v20, off, off offset:1124 ; 4-byte Folded Reload
	scratch_store_b32 off, v74, off offset:1136 ; 4-byte Folded Spill
	s_waitcnt vmcnt(0)
	v_add_nc_u32_e32 v74, 0, v20
	scratch_load_b32 v20, off, off offset:1348 ; 4-byte Folded Reload
	scratch_store_b32 off, v74, off offset:1124 ; 4-byte Folded Spill
	scratch_load_b32 v74, off, off offset:1296 ; 4-byte Folded Reload
	s_waitcnt vmcnt(0)
	v_add_nc_u32_e32 v167, 0, v74
	scratch_load_b32 v74, off, off offset:1292 ; 4-byte Folded Reload
	s_waitcnt vmcnt(0)
	v_add_nc_u32_e32 v163, 0, v74
	;; [unrolled: 3-line block ×6, first 2 shown]
	scratch_load_b32 v74, off, off offset:1268 ; 4-byte Folded Reload
	v_add_nc_u32_e32 v0, 0, v0
	s_waitcnt vmcnt(0)
	v_add_nc_u32_e32 v74, 0, v74
	scratch_store_b32 off, v74, off offset:1080 ; 4-byte Folded Spill
	scratch_load_b32 v74, off, off offset:1264 ; 4-byte Folded Reload
	v_add_nc_u32_e32 v9, 0, v1
	scratch_load_b32 v1, off, off offset:2620 ; 4-byte Folded Reload
	s_waitcnt vmcnt(1)
	v_add_nc_u32_e32 v74, 0, v74
	scratch_store_b32 off, v74, off offset:1112 ; 4-byte Folded Spill
	scratch_load_b32 v74, off, off offset:1260 ; 4-byte Folded Reload
	s_waitcnt vmcnt(1)
	v_add_nc_u32_e32 v3, 0, v1
	scratch_load_b32 v1, off, off offset:2612 ; 4-byte Folded Reload
	s_waitcnt vmcnt(1)
	v_add_nc_u32_e32 v74, 0, v74
	scratch_store_b32 off, v74, off offset:1100 ; 4-byte Folded Spill
	scratch_load_b32 v74, off, off offset:1256 ; 4-byte Folded Reload
	s_waitcnt vmcnt(1)
	v_add_nc_u32_e32 v13, 0, v1
	scratch_load_b32 v1, off, off offset:2604 ; 4-byte Folded Reload
	s_waitcnt vmcnt(1)
	v_add_nc_u32_e32 v74, 0, v74
	scratch_store_b32 off, v74, off offset:1096 ; 4-byte Folded Spill
	scratch_load_b32 v74, off, off offset:1252 ; 4-byte Folded Reload
	s_waitcnt vmcnt(1)
	v_add_nc_u32_e32 v7, 0, v1
	scratch_load_b32 v1, off, off offset:2596 ; 4-byte Folded Reload
	s_waitcnt vmcnt(1)
	v_add_nc_u32_e32 v74, 0, v74
	scratch_store_b32 off, v74, off offset:1104 ; 4-byte Folded Spill
	scratch_load_b32 v74, off, off offset:1248 ; 4-byte Folded Reload
	s_waitcnt vmcnt(1)
	v_add_nc_u32_e32 v14, 0, v1
	scratch_load_b32 v1, off, off offset:2588 ; 4-byte Folded Reload
	s_waitcnt vmcnt(1)
	v_add_nc_u32_e32 v74, 0, v74
	scratch_store_b32 off, v74, off offset:1084 ; 4-byte Folded Spill
	scratch_load_b32 v74, off, off offset:1244 ; 4-byte Folded Reload
	s_waitcnt vmcnt(1)
	v_add_nc_u32_e32 v11, 0, v1
	scratch_load_b32 v1, off, off offset:2580 ; 4-byte Folded Reload
	s_waitcnt vmcnt(1)
	v_add_nc_u32_e32 v74, 0, v74
	scratch_store_b32 off, v74, off offset:1108 ; 4-byte Folded Spill
	scratch_load_b32 v74, off, off offset:1240 ; 4-byte Folded Reload
	s_waitcnt vmcnt(1)
	v_add_nc_u32_e32 v15, 0, v1
	scratch_load_b32 v1, off, off offset:2572 ; 4-byte Folded Reload
	s_waitcnt vmcnt(1)
	v_add_nc_u32_e32 v74, 0, v74
	scratch_store_b32 off, v74, off offset:1088 ; 4-byte Folded Spill
	scratch_load_b32 v74, off, off offset:1236 ; 4-byte Folded Reload
	s_waitcnt vmcnt(1)
	v_add_nc_u32_e32 v1, 0, v1
	s_waitcnt vmcnt(0)
	v_add_nc_u32_e32 v250, 0, v74
	scratch_load_b32 v74, off, off offset:1232 ; 4-byte Folded Reload
	v_add_nc_u32_e32 v161, 0, v20
	scratch_load_b32 v20, off, off offset:1344 ; 4-byte Folded Reload
	s_waitcnt vmcnt(1)
	v_add_nc_u32_e32 v74, 0, v74
	scratch_store_b32 off, v74, off offset:1092 ; 4-byte Folded Spill
	scratch_load_b32 v74, off, off offset:1228 ; 4-byte Folded Reload
	s_waitcnt vmcnt(1)
	v_add_nc_u32_e32 v150, 0, v20
	scratch_load_b32 v20, off, off offset:1340 ; 4-byte Folded Reload
	s_waitcnt vmcnt(1)
	v_add_nc_u32_e32 v254, 0, v74
	scratch_load_b32 v74, off, off offset:1224 ; 4-byte Folded Reload
	s_waitcnt vmcnt(1)
	v_add_nc_u32_e32 v151, 0, v20
	scratch_load_b32 v20, off, off offset:1336 ; 4-byte Folded Reload
	s_waitcnt vmcnt(1)
	v_add_nc_u32_e32 v74, 0, v74
	scratch_store_b32 off, v74, off offset:1072 ; 4-byte Folded Spill
	scratch_load_b32 v74, off, off offset:1220 ; 4-byte Folded Reload
	s_waitcnt vmcnt(1)
	v_add_nc_u32_e32 v147, 0, v20
	scratch_load_b32 v20, off, off offset:1332 ; 4-byte Folded Reload
	s_waitcnt vmcnt(1)
	v_add_nc_u32_e32 v74, 0, v74
	scratch_store_b32 off, v74, off offset:1076 ; 4-byte Folded Spill
	scratch_load_b32 v74, off, off offset:1204 ; 4-byte Folded Reload
	s_waitcnt vmcnt(1)
	v_add_nc_u32_e32 v152, 0, v20
	scratch_load_b32 v20, off, off offset:1328 ; 4-byte Folded Reload
	s_waitcnt vmcnt(1)
	v_add_nc_u32_e32 v74, 0, v74
	scratch_store_b32 off, v74, off offset:1204 ; 4-byte Folded Spill
	scratch_load_b32 v74, off, off offset:1216 ; 4-byte Folded Reload
	v_add_nc_u32_e32 v10, 0, v2
	scratch_load_b32 v2, off, off offset:2556 ; 4-byte Folded Reload
	s_waitcnt vmcnt(1)
	v_add_nc_u32_e32 v74, 0, v74
	scratch_store_b32 off, v74, off offset:1236 ; 4-byte Folded Spill
	scratch_load_b32 v74, off, off offset:1212 ; 4-byte Folded Reload
	s_waitcnt vmcnt(1)
	v_add_nc_u32_e32 v4, 0, v2
	scratch_load_b32 v2, off, off offset:2548 ; 4-byte Folded Reload
	s_waitcnt vmcnt(1)
	v_add_nc_u32_e32 v74, 0, v74
	scratch_store_b32 off, v74, off offset:1224 ; 4-byte Folded Spill
	scratch_load_b32 v74, off, off offset:1208 ; 4-byte Folded Reload
	s_waitcnt vmcnt(1)
	v_add_nc_u32_e32 v2, 0, v2
	s_waitcnt vmcnt(0)
	v_add_nc_u32_e32 v74, 0, v74
	scratch_store_b32 off, v74, off offset:1220 ; 4-byte Folded Spill
	scratch_load_b32 v74, off, off offset:1200 ; 4-byte Folded Reload
	v_add_nc_u32_e32 v146, 0, v20
	scratch_load_b32 v20, off, off offset:1324 ; 4-byte Folded Reload
	s_waitcnt vmcnt(1)
	v_add_nc_u32_e32 v74, 0, v74
	scratch_store_b32 off, v74, off offset:1228 ; 4-byte Folded Spill
	scratch_load_b32 v74, off, off offset:1196 ; 4-byte Folded Reload
	s_waitcnt vmcnt(1)
	v_add_nc_u32_e32 v148, 0, v20
	scratch_load_b32 v20, off, off offset:1320 ; 4-byte Folded Reload
	s_waitcnt vmcnt(1)
	v_add_nc_u32_e32 v74, 0, v74
	scratch_store_b32 off, v74, off offset:1208 ; 4-byte Folded Spill
	scratch_load_b32 v74, off, off offset:1192 ; 4-byte Folded Reload
	s_waitcnt vmcnt(1)
	;; [unrolled: 7-line block ×4, first 2 shown]
	v_add_nc_u32_e32 v20, 0, v20
	s_waitcnt vmcnt(0)
	v_add_nc_u32_e32 v74, 0, v74
	scratch_store_b32 off, v74, off offset:1176 ; 4-byte Folded Spill
	scratch_load_b32 v74, off, off offset:1184 ; 4-byte Folded Reload
	v_add_nc_u32_e32 v8, 0, v5
	scratch_load_b32 v5, off, off offset:2532 ; 4-byte Folded Reload
	s_waitcnt vmcnt(1)
	v_add_nc_u32_e32 v74, 0, v74
	scratch_store_b32 off, v74, off offset:1216 ; 4-byte Folded Spill
	scratch_load_b32 v74, off, off offset:1180 ; 4-byte Folded Reload
	s_waitcnt vmcnt(1)
	v_add_nc_u32_e32 v5, 0, v5
	s_waitcnt vmcnt(0)
	v_add_nc_u32_e32 v74, 0, v74
	scratch_store_b32 off, v74, off offset:1192 ; 4-byte Folded Spill
	v_dual_mov_b32 v79, 0 :: v_dual_add_nc_u32 v74, 0, v79
	scratch_store_b32 off, v74, off offset:1180 ; 4-byte Folded Spill
	v_add_nc_u32_e32 v74, 0, v78
	v_mov_b32_e32 v78, 0
	scratch_store_b32 off, v74, off offset:1196 ; 4-byte Folded Spill
	v_dual_mov_b32 v77, 0 :: v_dual_add_nc_u32 v74, 0, v77
	scratch_store_b32 off, v74, off offset:1184 ; 4-byte Folded Spill
	v_add_nc_u32_e32 v74, 0, v76
	v_mov_b32_e32 v76, 0
	scratch_store_b32 off, v74, off offset:1200 ; 4-byte Folded Spill
	v_dual_mov_b32 v75, 0 :: v_dual_add_nc_u32 v74, 0, v75
	scratch_store_b32 off, v74, off offset:1188 ; 4-byte Folded Spill
	v_mov_b32_e32 v74, 0
	s_barrier
	s_waitcnt lgkmcnt(0)
	s_waitcnt_vscnt null, 0x0
	buffer_gl0_inv
	scratch_store_b32 off, v118, off offset:1472 ; 4-byte Folded Spill
	s_cbranch_vccnz .LBB0_73
; %bb.72:
	.loc	1 48 21                         ; attention_bwd.py:48:21 @[ attention_bwd.py:200:26 ]
	scratch_load_b32 v74, off, off offset:1236 ; 4-byte Folded Reload
	v_dual_mov_b32 v201, v208 :: v_dual_mov_b32 v208, v125
	s_clause 0x3                            ; 64-byte Folded Reload
	scratch_load_b128 v[98:101], off, off offset:728
	scratch_load_b128 v[102:105], off, off offset:744
	;; [unrolled: 1-line block ×4, first 2 shown]
	.loc	1 52 24                         ; attention_bwd.py:52:24 @[ attention_bwd.py:200:26 ]
	s_mov_b32 s11, s4
	s_mov_b32 s5, s4
	;; [unrolled: 1-line block ×7, first 2 shown]
	.loc	1 48 21                         ; attention_bwd.py:48:21 @[ attention_bwd.py:200:26 ]
	scratch_load_b32 v140, off, off offset:1080 ; 4-byte Folded Reload
	s_waitcnt vmcnt(5)
	ds_load_u16 v117, v74
	scratch_load_b32 v74, off, off offset:1220 ; 4-byte Folded Reload
	s_waitcnt vmcnt(0)
	ds_load_u16 v116, v74
	scratch_load_b32 v74, off, off offset:1208 ; 4-byte Folded Reload
	s_waitcnt vmcnt(0)
	ds_load_u16 v115, v74
	scratch_load_b32 v74, off, off offset:1212 ; 4-byte Folded Reload
	s_waitcnt vmcnt(0)
	ds_load_u16 v114, v74
	scratch_load_b32 v74, off, off offset:1216 ; 4-byte Folded Reload
	s_waitcnt vmcnt(0)
	ds_load_u16 v113, v74
	scratch_load_b32 v74, off, off offset:1180 ; 4-byte Folded Reload
	s_waitcnt vmcnt(0)
	ds_load_u16 v112, v74
	scratch_load_b32 v74, off, off offset:1184 ; 4-byte Folded Reload
	s_waitcnt vmcnt(0)
	ds_load_u16 v111, v74
	scratch_load_b32 v74, off, off offset:1188 ; 4-byte Folded Reload
	s_waitcnt vmcnt(0)
	ds_load_u16 v110, v74
	scratch_load_b32 v74, off, off offset:1172 ; 4-byte Folded Reload
	s_waitcnt vmcnt(0)
	ds_load_u16 v125, v74
	scratch_load_b32 v74, off, off offset:1156 ; 4-byte Folded Reload
	s_waitcnt vmcnt(0)
	ds_load_u16 v124, v74
	scratch_load_b32 v74, off, off offset:1144 ; 4-byte Folded Reload
	s_waitcnt vmcnt(0)
	ds_load_u16 v123, v74
	scratch_load_b32 v74, off, off offset:1148 ; 4-byte Folded Reload
	s_waitcnt vmcnt(0)
	ds_load_u16 v122, v74
	scratch_load_b32 v74, off, off offset:1152 ; 4-byte Folded Reload
	s_waitcnt vmcnt(0)
	ds_load_u16 v121, v74
	ds_load_u16 v120, v118
	scratch_load_b32 v74, off, off offset:1120 ; 4-byte Folded Reload
	s_waitcnt vmcnt(0)
	ds_load_u16 v119, v74
	scratch_load_b32 v74, off, off offset:1124 ; 4-byte Folded Reload
	s_waitcnt vmcnt(0)
	ds_load_u16 v118, v74
	scratch_load_b32 v74, off, off offset:1204 ; 4-byte Folded Reload
	s_waitcnt vmcnt(0) lgkmcnt(15)
	ds_load_u16_d16_hi v117, v74
	scratch_load_b32 v74, off, off offset:1224 ; 4-byte Folded Reload
	s_waitcnt vmcnt(0) lgkmcnt(15)
	ds_load_u16_d16_hi v116, v74
	scratch_load_b32 v74, off, off offset:1228 ; 4-byte Folded Reload
	s_waitcnt vmcnt(0) lgkmcnt(15)
	ds_load_u16_d16_hi v115, v74
	scratch_load_b32 v74, off, off offset:1232 ; 4-byte Folded Reload
	s_waitcnt vmcnt(0) lgkmcnt(15)
	ds_load_u16_d16_hi v114, v74
	scratch_load_b32 v74, off, off offset:1176 ; 4-byte Folded Reload
	s_waitcnt vmcnt(0) lgkmcnt(15)
	ds_load_u16_d16_hi v113, v74
	scratch_load_b32 v74, off, off offset:1192 ; 4-byte Folded Reload
	s_waitcnt vmcnt(0) lgkmcnt(15)
	ds_load_u16_d16_hi v112, v74
	scratch_load_b32 v74, off, off offset:1196 ; 4-byte Folded Reload
	s_waitcnt vmcnt(0) lgkmcnt(15)
	ds_load_u16_d16_hi v111, v74
	scratch_load_b32 v74, off, off offset:1200 ; 4-byte Folded Reload
	s_waitcnt vmcnt(0) lgkmcnt(15)
	ds_load_u16_d16_hi v110, v74
	scratch_load_b32 v74, off, off offset:1140 ; 4-byte Folded Reload
	s_waitcnt vmcnt(0) lgkmcnt(15)
	ds_load_u16_d16_hi v125, v74
	scratch_load_b32 v74, off, off offset:1160 ; 4-byte Folded Reload
	s_waitcnt vmcnt(0) lgkmcnt(15)
	ds_load_u16_d16_hi v124, v74
	scratch_load_b32 v74, off, off offset:1164 ; 4-byte Folded Reload
	s_waitcnt vmcnt(0) lgkmcnt(15)
	ds_load_u16_d16_hi v123, v74
	scratch_load_b32 v74, off, off offset:1168 ; 4-byte Folded Reload
	s_waitcnt vmcnt(0) lgkmcnt(15)
	ds_load_u16_d16_hi v122, v74
	scratch_load_b32 v74, off, off offset:1116 ; 4-byte Folded Reload
	s_waitcnt vmcnt(0) lgkmcnt(15)
	ds_load_u16_d16_hi v121, v74
	scratch_load_b32 v74, off, off offset:1128 ; 4-byte Folded Reload
	s_waitcnt vmcnt(0) lgkmcnt(15)
	ds_load_u16_d16_hi v120, v74
	scratch_load_b32 v74, off, off offset:1132 ; 4-byte Folded Reload
	s_waitcnt vmcnt(0) lgkmcnt(15)
	ds_load_u16_d16_hi v119, v74
	scratch_load_b32 v74, off, off offset:1136 ; 4-byte Folded Reload
	s_waitcnt vmcnt(0) lgkmcnt(15)
	ds_load_u16_d16_hi v118, v74
	.loc	1 52 24                         ; attention_bwd.py:52:24 @[ attention_bwd.py:200:26 ]
	v_dual_mov_b32 v81, s11 :: v_dual_mov_b32 v80, s10
	v_dual_mov_b32 v79, s9 :: v_dual_mov_b32 v78, s8
	;; [unrolled: 1-line block ×4, first 2 shown]
	s_waitcnt lgkmcnt(8)
	s_delay_alu instid0(VALU_DEP_1)
	v_wmma_f32_16x16x16_f16 v[82:89], v[110:117], v[98:105], v[74:81]
	s_waitcnt lgkmcnt(0)
	v_wmma_f32_16x16x16_f16 v[90:97], v[118:125], v[98:105], v[74:81]
	v_wmma_f32_16x16x16_f16 v[98:105], v[110:117], v[193:200], v[74:81]
	.loc	1 48 21                         ; attention_bwd.py:48:21 @[ attention_bwd.py:200:26 ]
	scratch_load_b32 v110, off, off offset:1112 ; 4-byte Folded Reload
	.loc	1 52 24                         ; attention_bwd.py:52:24 @[ attention_bwd.py:200:26 ]
	v_wmma_f32_16x16x16_f16 v[74:81], v[118:125], v[193:200], v[74:81]
	s_clause 0x1                            ; 32-byte Folded Reload
	scratch_load_b128 v[193:196], off, off offset:664
	scratch_load_b128 v[197:200], off, off offset:680
	.loc	1 48 21                         ; attention_bwd.py:48:21 @[ attention_bwd.py:200:26 ]
	s_waitcnt vmcnt(2)
	ds_load_u16 v117, v110
	scratch_load_b32 v110, off, off offset:1096 ; 4-byte Folded Reload
	s_waitcnt lgkmcnt(0)
	ds_load_u16_d16_hi v117, v140
	scratch_load_b32 v140, off, off offset:1100 ; 4-byte Folded Reload
	s_waitcnt vmcnt(1)
	ds_load_u16 v116, v110
	scratch_load_b32 v110, off, off offset:1084 ; 4-byte Folded Reload
	s_waitcnt vmcnt(1) lgkmcnt(0)
	ds_load_u16_d16_hi v116, v140
	scratch_load_b32 v140, off, off offset:1104 ; 4-byte Folded Reload
	s_waitcnt vmcnt(1)
	ds_load_u16 v115, v110
	scratch_load_b32 v110, off, off offset:1088 ; 4-byte Folded Reload
	s_waitcnt vmcnt(1) lgkmcnt(0)
	ds_load_u16_d16_hi v115, v140
	scratch_load_b32 v140, off, off offset:1108 ; 4-byte Folded Reload
	s_waitcnt vmcnt(1)
	ds_load_u16 v114, v110
	scratch_load_b32 v110, off, off offset:1092 ; 4-byte Folded Reload
	s_waitcnt vmcnt(0)
	ds_load_u16 v113, v110
	ds_load_u16 v112, v109
	ds_load_u16 v111, v108
	ds_load_u16 v110, v253
	ds_load_u16 v125, v249
	ds_load_u16 v124, v54
	ds_load_u16 v123, v18
	ds_load_u16 v122, v19
	ds_load_u16 v121, v56
	ds_load_u16 v120, v168
	ds_load_u16 v119, v169
	ds_load_u16 v118, v170
	s_waitcnt lgkmcnt(12)
	ds_load_u16_d16_hi v114, v140
	s_waitcnt lgkmcnt(12)
	ds_load_u16_d16_hi v113, v250
	;; [unrolled: 2-line block ×3, first 2 shown]
	scratch_load_b32 v140, off, off offset:1072 ; 4-byte Folded Reload
	s_waitcnt vmcnt(0) lgkmcnt(12)
	ds_load_u16_d16_hi v111, v140
	scratch_load_b32 v140, off, off offset:1076 ; 4-byte Folded Reload
	s_waitcnt vmcnt(0) lgkmcnt(12)
	ds_load_u16_d16_hi v110, v140
	s_waitcnt lgkmcnt(12)
	ds_load_u16_d16_hi v125, v17
	s_waitcnt lgkmcnt(12)
	;; [unrolled: 2-line block ×8, first 2 shown]
	ds_load_u16_d16_hi v118, v175
	.loc	1 52 24                         ; attention_bwd.py:52:24 @[ attention_bwd.py:200:26 ]
	s_waitcnt lgkmcnt(8)
	v_wmma_f32_16x16x16_f16 v[82:89], v[110:117], v[193:200], v[82:89]
	s_waitcnt lgkmcnt(0)
	v_wmma_f32_16x16x16_f16 v[90:97], v[118:125], v[193:200], v[90:97]
	s_clause 0x1                            ; 32-byte Folded Reload
	scratch_load_b128 v[193:196], off, off offset:632
	scratch_load_b128 v[197:200], off, off offset:648
	s_waitcnt vmcnt(0)
	v_wmma_f32_16x16x16_f16 v[98:105], v[110:117], v[193:200], v[98:105]
	v_wmma_f32_16x16x16_f16 v[74:81], v[118:125], v[193:200], v[74:81]
	s_clause 0x1                            ; 32-byte Folded Reload
	scratch_load_b128 v[193:196], off, off offset:600
	scratch_load_b128 v[197:200], off, off offset:616
	.loc	1 48 21                         ; attention_bwd.py:48:21 @[ attention_bwd.py:200:26 ]
	ds_load_u16 v117, v58
	ds_load_u16 v116, v20
	;; [unrolled: 1-line block ×16, first 2 shown]
	s_waitcnt lgkmcnt(15)
	ds_load_u16_d16_hi v117, v176
	s_waitcnt lgkmcnt(15)
	ds_load_u16_d16_hi v116, v61
	;; [unrolled: 2-line block ×16, first 2 shown]
	.loc	1 52 24                         ; attention_bwd.py:52:24 @[ attention_bwd.py:200:26 ]
	s_waitcnt vmcnt(0) lgkmcnt(8)
	v_wmma_f32_16x16x16_f16 v[82:89], v[110:117], v[193:200], v[82:89]
	s_waitcnt lgkmcnt(0)
	v_wmma_f32_16x16x16_f16 v[90:97], v[118:125], v[193:200], v[90:97]
	s_clause 0x1                            ; 32-byte Folded Reload
	scratch_load_b128 v[193:196], off, off offset:568
	scratch_load_b128 v[197:200], off, off offset:584
	s_waitcnt vmcnt(0)
	v_wmma_f32_16x16x16_f16 v[98:105], v[110:117], v[193:200], v[98:105]
	v_wmma_f32_16x16x16_f16 v[74:81], v[118:125], v[193:200], v[74:81]
	s_clause 0x1                            ; 32-byte Folded Reload
	scratch_load_b128 v[193:196], off, off offset:536
	scratch_load_b128 v[197:200], off, off offset:552
	.loc	1 48 21                         ; attention_bwd.py:48:21 @[ attention_bwd.py:200:26 ]
	ds_load_u16 v117, v161
	ds_load_u16 v116, v47
	;; [unrolled: 1-line block ×16, first 2 shown]
	s_waitcnt lgkmcnt(15)
	ds_load_u16_d16_hi v117, v45
	s_waitcnt lgkmcnt(15)
	ds_load_u16_d16_hi v116, v46
	;; [unrolled: 2-line block ×16, first 2 shown]
	.loc	1 52 24                         ; attention_bwd.py:52:24 @[ attention_bwd.py:200:26 ]
	s_waitcnt vmcnt(0) lgkmcnt(8)
	v_wmma_f32_16x16x16_f16 v[82:89], v[110:117], v[193:200], v[82:89]
	s_waitcnt lgkmcnt(0)
	v_wmma_f32_16x16x16_f16 v[90:97], v[118:125], v[193:200], v[90:97]
	s_clause 0x1                            ; 32-byte Folded Reload
	scratch_load_b128 v[193:196], off, off offset:504
	scratch_load_b128 v[197:200], off, off offset:520
	s_waitcnt vmcnt(0)
	v_wmma_f32_16x16x16_f16 v[98:105], v[110:117], v[193:200], v[98:105]
	v_wmma_f32_16x16x16_f16 v[74:81], v[118:125], v[193:200], v[74:81]
	v_dual_mov_b32 v125, v208 :: v_dual_mov_b32 v208, v201
.LBB0_73:
	.loc	1 0 24 is_stmt 0                ; attention_bwd.py:0:24
	s_clause 0x1f                           ; 128-byte Folded Spill
	scratch_store_b32 off, v254, off offset:1468
	scratch_store_b32 off, v253, off offset:1464
	;; [unrolled: 1-line block ×32, first 2 shown]
	s_clause 0x1f                           ; 128-byte Folded Spill
	scratch_store_b32 off, v166, off offset:1068
	scratch_store_b32 off, v165, off offset:1064
	;; [unrolled: 1-line block ×32, first 2 shown]
	s_clause 0x12                           ; 76-byte Folded Spill
	scratch_store_b32 off, v106, off offset:992
	scratch_store_b32 off, v73, off offset:1032
	;; [unrolled: 1-line block ×19, first 2 shown]
	s_clause 0x5                            ; 24-byte Folded Reload
	scratch_load_b32 v46, off, off offset:240
	scratch_load_b32 v45, off, off offset:1288
	;; [unrolled: 1-line block ×6, first 2 shown]
	.loc	1 53 32 is_stmt 1               ; attention_bwd.py:53:32 @[ attention_bwd.py:200:26 ]
	v_dual_sub_f32 v0, v82, v137 :: v_dual_sub_f32 v1, v83, v130
	v_dual_sub_f32 v2, v84, v136 :: v_dual_sub_f32 v3, v85, v135
	;; [unrolled: 1-line block ×3, first 2 shown]
	s_delay_alu instid0(VALU_DEP_3) | instskip(NEXT) | instid1(VALU_DEP_3)
	.loc	1 53 26 is_stmt 0               ; attention_bwd.py:53:26 @[ attention_bwd.py:200:26 ]
	v_exp_f32_e32 v191, v0
	v_exp_f32_e32 v115, v1
	.loc	1 53 32                         ; attention_bwd.py:53:32 @[ attention_bwd.py:200:26 ]
	v_dual_sub_f32 v4, v86, v134 :: v_dual_sub_f32 v5, v87, v133
	v_dual_sub_f32 v8, v98, v137 :: v_dual_sub_f32 v9, v99, v130
	;; [unrolled: 1-line block ×3, first 2 shown]
	v_sub_f32_e32 v74, v74, v208
	.loc	1 53 26                         ; attention_bwd.py:53:26 @[ attention_bwd.py:200:26 ]
	v_exp_f32_e32 v128, v2
	v_exp_f32_e32 v116, v3
	v_exp_f32_e32 v208, v6
	v_exp_f32_e32 v118, v7
	.loc	1 53 32                         ; attention_bwd.py:53:32 @[ attention_bwd.py:200:26 ]
	v_dual_sub_f32 v10, v100, v136 :: v_dual_sub_f32 v11, v101, v135
	v_dual_sub_f32 v12, v102, v134 :: v_dual_sub_f32 v13, v103, v133
	.loc	1 53 26                         ; attention_bwd.py:53:26 @[ attention_bwd.py:200:26 ]
	v_exp_f32_e32 v110, v8
	v_exp_f32_e32 v189, v9
	.loc	1 61 21 is_stmt 1               ; attention_bwd.py:61:21 @[ attention_bwd.py:200:26 ]
	v_cvt_f16_f32_e64 v0, v191
	v_cvt_f16_f32_e32 v1, v115
	.loc	1 53 26                         ; attention_bwd.py:53:26 @[ attention_bwd.py:200:26 ]
	v_exp_f32_e32 v177, v10
	v_exp_f32_e32 v190, v11
	.loc	1 61 21                         ; attention_bwd.py:61:21 @[ attention_bwd.py:200:26 ]
	v_cvt_f16_f32_e64 v2, v128
	v_cvt_f16_f32_e32 v3, v116
	v_cvt_f16_f32_e64 v6, v208
	v_cvt_f16_f32_e32 v7, v118
	v_pack_b32_f16 v11, v0, v1
	.loc	1 53 26                         ; attention_bwd.py:53:26 @[ attention_bwd.py:200:26 ]
	v_exp_f32_e32 v42, v12
	v_exp_f32_e32 v38, v13
	.loc	1 53 32 is_stmt 0               ; attention_bwd.py:53:32 @[ attention_bwd.py:200:26 ]
	v_dual_sub_f32 v14, v104, v132 :: v_dual_sub_f32 v15, v105, v131
	.loc	1 61 21 is_stmt 1               ; attention_bwd.py:61:21 @[ attention_bwd.py:200:26 ]
	v_pack_b32_f16 v0, v6, v7
	v_cvt_f16_f32_e64 v6, v189
	.loc	1 53 26                         ; attention_bwd.py:53:26 @[ attention_bwd.py:200:26 ]
	v_exp_f32_e32 v192, v4
	v_exp_f32_e32 v117, v5
	;; [unrolled: 1-line block ×5, first 2 shown]
	.loc	1 53 32 is_stmt 0               ; attention_bwd.py:53:32 @[ attention_bwd.py:200:26 ]
	v_sub_f32_e32 v81, v81, v125
	.loc	1 53 26                         ; attention_bwd.py:53:26 @[ attention_bwd.py:200:26 ]
	v_exp_f32_e32 v37, v74
	.loc	1 61 21 is_stmt 1               ; attention_bwd.py:61:21 @[ attention_bwd.py:200:26 ]
	v_cvt_f16_f32_e64 v7, v177
	s_mov_b32 s1, 0x76543210
	v_dual_mov_b32 v193, v29 :: v_dual_mov_b32 v194, v30
	v_cvt_f16_f32_e64 v4, v192
	v_cvt_f16_f32_e32 v5, v117
	v_dual_mov_b32 v195, v31 :: v_dual_mov_b32 v196, v32
	v_dual_mov_b32 v197, v33 :: v_dual_mov_b32 v198, v34
	s_delay_alu instid0(VALU_DEP_3)
	v_pack_b32_f16 v253, v4, v5
	v_cvt_f16_f32_e64 v5, v188
	v_dual_mov_b32 v199, v35 :: v_dual_mov_b32 v200, v36
	v_dual_mov_b32 v47, v211 :: v_dual_mov_b32 v48, v212
	;; [unrolled: 1-line block ×24, first 2 shown]
	v_mov_b32_e32 v90, 0
	v_dual_mov_b32 v98, 0 :: v_dual_mov_b32 v99, 0
	v_dual_mov_b32 v100, 0 :: v_dual_mov_b32 v101, 0
	;; [unrolled: 1-line block ×3, first 2 shown]
	v_mov_b32_e32 v104, 0
	v_mov_b32_e32 v88, 0
	v_permlanex16_b32 v61, v253, s1, 0xfedcba98 op_sel:[1,0]
	v_permlanex16_b32 v62, v0, s1, 0xfedcba98 op_sel:[1,0]
	v_mov_b32_e32 v97, 0
	v_mov_b32_e32 v87, 0
	.loc	1 53 32                         ; attention_bwd.py:53:32 @[ attention_bwd.py:200:26 ]
	s_waitcnt vmcnt(4)
	v_dual_sub_f32 v73, v91, v46 :: v_dual_sub_f32 v82, v92, v45
	s_waitcnt vmcnt(2)
	v_dual_sub_f32 v83, v93, v20 :: v_dual_sub_f32 v84, v94, v19
	s_waitcnt vmcnt(1)
	v_sub_f32_e32 v85, v95, v18
	.loc	1 53 26 is_stmt 0               ; attention_bwd.py:53:26 @[ attention_bwd.py:200:26 ]
	v_exp_f32_e32 v65, v16
	v_exp_f32_e32 v66, v82
	;; [unrolled: 1-line block ×5, first 2 shown]
	.loc	1 61 21 is_stmt 1               ; attention_bwd.py:61:21 @[ attention_bwd.py:200:26 ]
	v_pack_b32_f16 v16, v2, v3
	.loc	1 53 32                         ; attention_bwd.py:53:32 @[ attention_bwd.py:200:26 ]
	s_waitcnt vmcnt(0)
	v_dual_sub_f32 v86, v96, v17 :: v_dual_sub_f32 v75, v75, v46
	v_dual_sub_f32 v76, v76, v45 :: v_dual_sub_f32 v77, v77, v20
	v_sub_f32_e32 v80, v80, v17
	.loc	1 61 21                         ; attention_bwd.py:61:21 @[ attention_bwd.py:200:26 ]
	v_cvt_f16_f32_e32 v10, v66
	s_delay_alu instid0(TRANS32_DEP_3) | instskip(NEXT) | instid1(TRANS32_DEP_2)
	v_cvt_f16_f32_e64 v1, v186
	v_cvt_f16_f32_e32 v2, v67
	s_delay_alu instid0(TRANS32_DEP_1)
	v_cvt_f16_f32_e64 v3, v187
	.loc	1 53 26                         ; attention_bwd.py:53:26 @[ attention_bwd.py:200:26 ]
	v_exp_f32_e32 v68, v86
	v_exp_f32_e32 v111, v76
	.loc	1 61 21                         ; attention_bwd.py:61:21 @[ attention_bwd.py:200:26 ]
	v_pack_b32_f16 v10, v10, v1
	v_cvt_f16_f32_e32 v1, v110
	v_pack_b32_f16 v12, v2, v3
	v_cvt_f16_f32_e32 v2, v38
	.loc	1 53 26                         ; attention_bwd.py:53:26 @[ attention_bwd.py:200:26 ]
	v_exp_f32_e32 v41, v77
	.loc	1 61 21                         ; attention_bwd.py:61:21 @[ attention_bwd.py:200:26 ]
	v_cvt_f16_f32_e32 v3, v44
	v_pack_b32_f16 v105, v1, v6
	v_cvt_f16_f32_e32 v1, v42
	v_cvt_f16_f32_e32 v4, v68
	.loc	1 53 32                         ; attention_bwd.py:53:32 @[ attention_bwd.py:200:26 ]
	v_dual_sub_f32 v78, v78, v19 :: v_dual_sub_f32 v79, v79, v18
	.loc	1 53 26 is_stmt 0               ; attention_bwd.py:53:26 @[ attention_bwd.py:200:26 ]
	v_exp_f32_e32 v119, v73
	s_delay_alu instid0(VALU_DEP_3)
	.loc	1 61 21 is_stmt 1               ; attention_bwd.py:61:21 @[ attention_bwd.py:200:26 ]
	v_pack_b32_f16 v107, v1, v2
	scratch_load_b32 v2, off, off offset:1300 ; 4-byte Folded Reload
	v_pack_b32_f16 v13, v4, v5
	v_cvt_f16_f32_e32 v4, v39
	v_mov_b32_e32 v1, 0x5410
	.loc	1 53 26                         ; attention_bwd.py:53:26 @[ attention_bwd.py:200:26 ]
	v_exp_f32_e32 v114, v80
	v_exp_f32_e32 v40, v75
	;; [unrolled: 1-line block ×3, first 2 shown]
	.loc	1 61 21                         ; attention_bwd.py:61:21 @[ attention_bwd.py:200:26 ]
	v_pack_b32_f16 v125, v3, v4
	v_cvt_f16_f32_e32 v3, v111
	v_cvt_f16_f32_e32 v4, v41
	.loc	1 53 26                         ; attention_bwd.py:53:26 @[ attention_bwd.py:200:26 ]
	v_exp_f32_e32 v43, v79
	.loc	1 61 21                         ; attention_bwd.py:61:21 @[ attention_bwd.py:200:26 ]
	v_cvt_f16_f32_e32 v8, v65
	v_cvt_f16_f32_e32 v9, v119
	;; [unrolled: 1-line block ×3, first 2 shown]
	v_pack_b32_f16 v15, v3, v4
	v_cvt_f16_f32_e32 v3, v114
	v_cvt_f16_f32_e32 v6, v40
	v_pack_b32_f16 v9, v8, v9
	v_cvt_f16_f32_e64 v8, v190
	v_dual_mov_b32 v45, v209 :: v_dual_mov_b32 v46, v210
	s_delay_alu instid0(VALU_DEP_4)
	v_pack_b32_f16 v14, v5, v6
	v_cvt_f16_f32_e32 v5, v112
	v_cvt_f16_f32_e32 v6, v43
	v_pack_b32_f16 v106, v7, v8
	v_dual_mov_b32 v7, v223 :: v_dual_mov_b32 v8, v224
	v_mov_b32_e32 v91, 0
	s_delay_alu instid0(VALU_DEP_4)
	v_pack_b32_f16 v17, v5, v6
	v_dual_mov_b32 v92, 0 :: v_dual_mov_b32 v93, 0
	v_dual_mov_b32 v94, 0 :: v_dual_mov_b32 v95, 0
	v_mov_b32_e32 v96, 0
	v_dual_mov_b32 v82, 0 :: v_dual_mov_b32 v83, 0
	v_dual_mov_b32 v84, 0 :: v_dual_mov_b32 v85, 0
	v_mov_b32_e32 v86, 0
	v_permlanex16_b32 v19, v11, s1, 0xfedcba98 op_sel:[1,0]
	v_permlanex16_b32 v20, v16, s1, 0xfedcba98 op_sel:[1,0]
	;; [unrolled: 1-line block ×12, first 2 shown]
	s_clause 0x1                            ; 8-byte Folded Spill
	scratch_store_b32 off, v202, off offset:1288
	scratch_store_b32 off, v143, off offset:1300
	v_dual_mov_b32 v5, v221 :: v_dual_mov_b32 v6, v222
	s_waitcnt vmcnt(0)
	v_cmp_eq_u32_e32 vcc_lo, 0, v2
	v_mov_b32_e32 v2, 0x7632
	.loc	1 53 26                         ; attention_bwd.py:53:26 @[ attention_bwd.py:200:26 ]
	v_exp_f32_e32 v113, v81
	v_mov_b32_e32 v81, 0
	.loc	1 61 21                         ; attention_bwd.py:61:21 @[ attention_bwd.py:200:26 ]
	v_cndmask_b32_e32 v1, 0x1054, v1, vcc_lo
	s_delay_alu instid0(VALU_DEP_3) | instskip(SKIP_1) | instid1(VALU_DEP_1)
	v_cndmask_b32_e32 v2, 0x3276, v2, vcc_lo
	.loc	1 66 24                         ; attention_bwd.py:66:24 @[ attention_bwd.py:200:26 ]
	s_and_b32 vcc_lo, exec_lo, s2
	.loc	1 61 21                         ; attention_bwd.py:61:21 @[ attention_bwd.py:200:26 ]
	v_lshl_or_b32 v2, v2, 8, v2
	s_waitcnt_depctr depctr_va_vdst(0)
	v_cvt_f16_f32_e32 v4, v113
	v_and_b32_e32 v2, 0x760076, v2
	s_delay_alu instid0(VALU_DEP_2) | instskip(SKIP_1) | instid1(VALU_DEP_3)
	v_pack_b32_f16 v18, v3, v4
	v_dual_mov_b32 v3, v219 :: v_dual_mov_b32 v4, v220
	v_lshl_or_b32 v2, v2, 4, v2
	s_delay_alu instid0(VALU_DEP_3) | instskip(NEXT) | instid1(VALU_DEP_2)
	v_permlanex16_b32 v108, v18, s1, 0xfedcba98 op_sel:[1,0]
	v_and_b32_e32 v250, 0x7060706, v2
	v_mov_b32_e32 v2, v218
	v_lshl_or_b32 v1, v1, 8, v1
	s_delay_alu instid0(VALU_DEP_1) | instskip(NEXT) | instid1(VALU_DEP_1)
	v_and_b32_e32 v1, 0x540054, v1
	v_lshl_or_b32 v1, v1, 4, v1
	s_delay_alu instid0(VALU_DEP_1)
	v_and_b32_e32 v249, 0x5040504, v1
	v_mov_b32_e32 v1, v217
	s_clause 0x1                            ; 32-byte Folded Spill
	scratch_store_b128 off, v[1:4], off
	scratch_store_b128 off, v[5:8], off offset:16
	v_dual_mov_b32 v1, v21 :: v_dual_mov_b32 v2, v22
	v_dual_mov_b32 v3, v23 :: v_dual_mov_b32 v4, v24
	;; [unrolled: 1-line block ×4, first 2 shown]
	s_clause 0x1                            ; 32-byte Folded Spill
	scratch_store_b128 off, v[1:4], off offset:32
	scratch_store_b128 off, v[5:8], off offset:48
	scratch_load_b32 v1, off, off offset:2516 ; 4-byte Folded Reload
	v_permlanex16_b32 v2, v13, s1, 0xfedcba98 op_sel:[1,0]
	.loc	1 0 0 is_stmt 0                 ; attention_bwd.py:0 @[ attention_bwd.py:200:26 ]
	s_waitcnt vmcnt(0)
	v_add_nc_u32_e32 v254, 0, v1
	s_cbranch_vccnz .LBB0_75
; %bb.74:
	scratch_store_b32 off, v128, off offset:240 ; 4-byte Folded Spill
	v_dual_mov_b32 v203, v112 :: v_dual_add_nc_u32 v128, v254, v1
	s_clause 0x3                            ; 16-byte Folded Spill
	scratch_store_b32 off, v110, off offset:160
	scratch_store_b32 off, v177, off offset:192
	scratch_store_b32 off, v37, off offset:224
	scratch_store_b32 off, v111, off offset:232
	v_dual_mov_b32 v37, v2 :: v_dual_mov_b32 v80, v12
	s_clause 0x1                            ; 32-byte Folded Reload
	scratch_load_b128 v[1:4], off, off offset:1700
	scratch_load_b128 v[5:8], off, off offset:1716
	v_dual_mov_b32 v204, v113 :: v_dual_mov_b32 v205, v114
	.loc	1 66 24 is_stmt 1               ; attention_bwd.py:66:24 @[ attention_bwd.py:200:26 ]
	ds_load_b128 v[110:113], v128 offset:4096
	v_dual_mov_b32 v202, v115 :: v_dual_mov_b32 v201, v116
	s_mov_b32 s5, s4
	s_mov_b32 s6, s4
	;; [unrolled: 1-line block ×7, first 2 shown]
	s_delay_alu instid0(SALU_CYCLE_1)
	v_dual_mov_b32 v177, v117 :: v_dual_mov_b32 v88, s11
	ds_load_b128 v[114:117], v128 offset:4112
	ds_load_b128 v[133:136], v128 offset:6160
	;; [unrolled: 1-line block ×3, first 2 shown]
	v_dual_mov_b32 v87, s10 :: v_dual_mov_b32 v86, s9
	v_dual_mov_b32 v85, s8 :: v_dual_mov_b32 v84, s7
	;; [unrolled: 1-line block ×4, first 2 shown]
	.loc	1 61 21                         ; attention_bwd.py:61:21 @[ attention_bwd.py:200:26 ]
	v_perm_b32 v124, v62, v0, v249
	v_perm_b32 v123, v61, v253, v250
	;; [unrolled: 1-line block ×5, first 2 shown]
	v_mov_b32_e32 v109, v119
	v_perm_b32 v119, v19, v11, v250
	v_mov_b32_e32 v253, v118
	v_perm_b32 v118, v19, v11, v249
	v_mov_b32_e32 v75, v9
	.loc	1 62 26                         ; attention_bwd.py:62:26 @[ attention_bwd.py:200:26 ]
	v_mov_b32_e32 v45, v209
	v_mov_b32_e32 v47, v211
	v_dual_mov_b32 v49, v213 :: v_dual_mov_b32 v20, v68
	v_mov_b32_e32 v51, v215
	v_mov_b32_e32 v19, v67
	v_mov_b32_e32 v53, v225
	v_mov_b32_e32 v55, v227
	v_mov_b32_e32 v57, v229
	v_dual_mov_b32 v59, v231 :: v_dual_mov_b32 v46, v210
	v_mov_b32_e32 v48, v212
	v_mov_b32_e32 v50, v214
	;; [unrolled: 1-line block ×6, first 2 shown]
	v_dual_mov_b32 v194, v30 :: v_dual_mov_b32 v199, v35
	v_mov_b32_e32 v197, v33
	v_mov_b32_e32 v195, v31
	v_dual_mov_b32 v193, v29 :: v_dual_mov_b32 v54, v226
	v_mov_b32_e32 v56, v228
	v_mov_b32_e32 v58, v230
	;; [unrolled: 1-line block ×3, first 2 shown]
	.loc	1 66 24                         ; attention_bwd.py:66:24 @[ attention_bwd.py:200:26 ]
	s_waitcnt vmcnt(0) lgkmcnt(2)
	v_wmma_f32_16x16x16_f16 v[233:240], v[110:117], v[1:8], v[81:88]
	s_waitcnt lgkmcnt(0)
	v_wmma_f32_16x16x16_f16 v[89:96], v[129:136], v[1:8], v[81:88]
	s_clause 0x1                            ; 32-byte Folded Reload
	scratch_load_b128 v[1:4], off, off offset:1668
	scratch_load_b128 v[5:8], off, off offset:1684
	s_waitcnt vmcnt(0)
	v_wmma_f32_16x16x16_f16 v[97:104], v[110:117], v[1:8], v[81:88]
	v_wmma_f32_16x16x16_f16 v[81:88], v[129:136], v[1:8], v[81:88]
	s_clause 0x1                            ; 32-byte Folded Reload
	scratch_load_b128 v[1:4], off, off offset:1636
	scratch_load_b128 v[5:8], off, off offset:1652
	ds_load_b128 v[110:113], v128 offset:4128
	ds_load_b128 v[114:117], v128 offset:4144
	;; [unrolled: 1-line block ×4, first 2 shown]
	s_waitcnt vmcnt(0) lgkmcnt(2)
	v_wmma_f32_16x16x16_f16 v[233:240], v[110:117], v[1:8], v[233:240]
	s_waitcnt lgkmcnt(0)
	v_wmma_f32_16x16x16_f16 v[89:96], v[129:136], v[1:8], v[89:96]
	s_clause 0x1                            ; 32-byte Folded Reload
	scratch_load_b128 v[1:4], off, off offset:1604
	scratch_load_b128 v[5:8], off, off offset:1620
	s_waitcnt vmcnt(0)
	v_wmma_f32_16x16x16_f16 v[97:104], v[110:117], v[1:8], v[97:104]
	v_wmma_f32_16x16x16_f16 v[81:88], v[129:136], v[1:8], v[81:88]
	s_clause 0x1                            ; 32-byte Folded Reload
	scratch_load_b128 v[1:4], off, off offset:1572
	scratch_load_b128 v[5:8], off, off offset:1588
	ds_load_b128 v[114:117], v128 offset:4176
	ds_load_b128 v[110:113], v128 offset:4160
	;; [unrolled: 1-line block ×4, first 2 shown]
	s_waitcnt vmcnt(0) lgkmcnt(2)
	v_wmma_f32_16x16x16_f16 v[233:240], v[110:117], v[1:8], v[233:240]
	s_waitcnt lgkmcnt(0)
	v_wmma_f32_16x16x16_f16 v[89:96], v[129:136], v[1:8], v[89:96]
	s_clause 0x1                            ; 32-byte Folded Reload
	scratch_load_b128 v[1:4], off, off offset:1540
	scratch_load_b128 v[5:8], off, off offset:1556
	s_waitcnt vmcnt(0)
	v_wmma_f32_16x16x16_f16 v[97:104], v[110:117], v[1:8], v[97:104]
	.loc	1 61 21                         ; attention_bwd.py:61:21 @[ attention_bwd.py:200:26 ]
	v_perm_b32 v117, v127, v125, v250
	v_perm_b32 v116, v127, v125, v249
	v_perm_b32 v125, v62, v0, v250
	.loc	1 58 21                         ; attention_bwd.py:58:21 @[ attention_bwd.py:200:26 ]
	scratch_load_b32 v0, off, off offset:1464 ; 4-byte Folded Reload
	.loc	1 66 24                         ; attention_bwd.py:66:24 @[ attention_bwd.py:200:26 ]
	v_wmma_f32_16x16x16_f16 v[81:88], v[129:136], v[1:8], v[81:88]
	.loc	1 61 21                         ; attention_bwd.py:61:21 @[ attention_bwd.py:200:26 ]
	v_perm_b32 v115, v126, v107, v250
	v_perm_b32 v114, v126, v107, v249
	;; [unrolled: 1-line block ×6, first 2 shown]
	v_dual_mov_b32 v105, v13 :: v_dual_mov_b32 v106, v14
	v_mov_b32_e32 v107, v15
	.loc	1 62 26                         ; attention_bwd.py:62:26 @[ attention_bwd.py:200:26 ]
	v_mov_b32_e32 v9, v217
	v_dual_mov_b32 v1, v153 :: v_dual_mov_b32 v10, v218
	v_dual_mov_b32 v11, v219 :: v_dual_mov_b32 v4, v156
	;; [unrolled: 1-line block ×3, first 2 shown]
	v_mov_b32_e32 v6, v158
	v_dual_mov_b32 v14, v222 :: v_dual_mov_b32 v15, v223
	v_mov_b32_e32 v8, v160
	v_mov_b32_e32 v16, v224
	v_dual_mov_b32 v2, v154 :: v_dual_mov_b32 v3, v155
	v_mov_b32_e32 v5, v157
	v_dual_mov_b32 v7, v159 :: v_dual_mov_b32 v126, v17
	v_mov_b32_e32 v17, v65
	v_mov_b32_e32 v127, v18
	;; [unrolled: 1-line block ×3, first 2 shown]
	v_dual_mov_b32 v68, v28 :: v_dual_mov_b32 v67, v27
	v_dual_mov_b32 v66, v26 :: v_dual_mov_b32 v65, v25
	;; [unrolled: 1-line block ×4, first 2 shown]
	.loc	1 58 21                         ; attention_bwd.py:58:21 @[ attention_bwd.py:200:26 ]
	s_waitcnt vmcnt(0)
	ds_load_u16 v149, v0 offset:4096
	scratch_load_b32 v0, off, off offset:1188 ; 4-byte Folded Reload
	s_waitcnt vmcnt(0)
	ds_load_u16 v145, v0 offset:4096
	scratch_load_b32 v0, off, off offset:1200 ; 4-byte Folded Reload
	;; [unrolled: 3-line block ×10, first 2 shown]
	s_waitcnt vmcnt(0) lgkmcnt(7)
	ds_load_u16_d16_hi v161, v0 offset:4096
	scratch_load_b32 v0, off, off offset:1192 ; 4-byte Folded Reload
	s_waitcnt vmcnt(0)
	ds_load_u16 v162, v0 offset:4096
	scratch_load_b32 v0, off, off offset:1184 ; 4-byte Folded Reload
	s_waitcnt vmcnt(0)
	ds_load_u16_d16_hi v145, v0 offset:4096
	scratch_load_b32 v0, off, off offset:1212 ; 4-byte Folded Reload
	s_waitcnt vmcnt(0)
	ds_load_u16 v147, v0 offset:4096
	scratch_load_b32 v0, off, off offset:1460 ; 4-byte Folded Reload
	s_waitcnt vmcnt(0)
	ds_load_u16_d16_hi v149, v0 offset:4096
	scratch_load_b32 v0, off, off offset:1452 ; 4-byte Folded Reload
	s_waitcnt vmcnt(0) lgkmcnt(11)
	ds_load_u16_d16_hi v166, v0 offset:4096
	scratch_load_b32 v0, off, off offset:1220 ; 4-byte Folded Reload
	s_waitcnt vmcnt(0)
	ds_load_u16 v148, v0 offset:4096
	scratch_load_b32 v0, off, off offset:1088 ; 4-byte Folded Reload
	s_waitcnt vmcnt(0)
	ds_load_u16 v151, v0 offset:4096
	scratch_load_b32 v0, off, off offset:1092 ; 4-byte Folded Reload
	s_waitcnt vmcnt(0) lgkmcnt(13)
	ds_load_u16_d16_hi v150, v0 offset:4096
	scratch_load_b32 v0, off, off offset:1100 ; 4-byte Folded Reload
	s_waitcnt vmcnt(0)
	ds_load_u16 v168, v0 offset:4096
	scratch_load_b32 v0, off, off offset:1072 ; 4-byte Folded Reload
	s_waitcnt vmcnt(0) lgkmcnt(14)
	ds_load_u16_d16_hi v165, v0 offset:4096
	;; [unrolled: 6-line block ×3, first 2 shown]
	scratch_load_b32 v0, off, off offset:1216 ; 4-byte Folded Reload
	s_waitcnt vmcnt(0)
	ds_load_u16_d16_hi v146, v0 offset:4096
	scratch_load_b32 v0, off, off offset:1228 ; 4-byte Folded Reload
	s_waitcnt vmcnt(0)
	ds_load_u16_d16_hi v163, v0 offset:4096
	scratch_load_b32 v0, off, off offset:1208 ; 4-byte Folded Reload
	s_waitcnt vmcnt(0) lgkmcnt(11)
	ds_load_u16_d16_hi v147, v0 offset:4096
	scratch_load_b32 v0, off, off offset:1204 ; 4-byte Folded Reload
	s_waitcnt vmcnt(0)
	ds_load_u16_d16_hi v164, v0 offset:4096
	scratch_load_b32 v0, off, off offset:1236 ; 4-byte Folded Reload
	s_waitcnt vmcnt(0) lgkmcnt(10)
	ds_load_u16_d16_hi v148, v0 offset:4096
	scratch_load_b32 v0, off, off offset:1084 ; 4-byte Folded Reload
	s_waitcnt vmcnt(0) lgkmcnt(10)
	ds_load_u16_d16_hi v151, v0 offset:4096
	scratch_load_b32 v0, off, off offset:1080 ; 4-byte Folded Reload
	s_waitcnt vmcnt(0) lgkmcnt(9)
	ds_load_u16_d16_hi v168, v0 offset:4096
	scratch_load_b32 v0, off, off offset:1112 ; 4-byte Folded Reload
	s_waitcnt vmcnt(0)
	ds_load_u16_d16_hi v152, v0 offset:4096
	scratch_load_b32 v0, off, off offset:1104 ; 4-byte Folded Reload
	.loc	1 62 26                         ; attention_bwd.py:62:26 @[ attention_bwd.py:200:26 ]
	s_waitcnt lgkmcnt(0)
	v_wmma_f32_16x16x16_f16 v[9:16], v[145:152], v[118:125], v[9:16]
	v_wmma_f32_16x16x16_f16 v[1:8], v[145:152], v[110:117], v[1:8]
	.loc	1 58 21                         ; attention_bwd.py:58:21 @[ attention_bwd.py:200:26 ]
	s_waitcnt vmcnt(0)
	ds_load_u16_d16_hi v167, v0 offset:4096
	scratch_load_b32 v0, off, off offset:1064 ; 4-byte Folded Reload
	.loc	1 62 26                         ; attention_bwd.py:62:26 @[ attention_bwd.py:200:26 ]
	s_waitcnt lgkmcnt(0)
	v_wmma_f32_16x16x16_f16 v[45:52], v[161:168], v[118:125], v[45:52]
	v_wmma_f32_16x16x16_f16 v[61:68], v[161:168], v[110:117], v[61:68]
	v_dual_mov_b32 v161, v241 :: v_dual_mov_b32 v162, v242
	v_dual_mov_b32 v163, v243 :: v_dual_mov_b32 v164, v244
	;; [unrolled: 1-line block ×4, first 2 shown]
	.loc	1 58 21                         ; attention_bwd.py:58:21 @[ attention_bwd.py:200:26 ]
	s_waitcnt vmcnt(0)
	ds_load_u16 v73, v0 offset:4096
	scratch_load_b32 v0, off, off offset:1372 ; 4-byte Folded Reload
	s_waitcnt vmcnt(0)
	ds_load_u16 v129, v0 offset:4096
	scratch_load_b32 v0, off, off offset:1024 ; 4-byte Folded Reload
	s_waitcnt vmcnt(0) lgkmcnt(1)
	ds_load_u16_d16_hi v73, v0 offset:4096
	scratch_load_b32 v0, off, off offset:1020 ; 4-byte Folded Reload
	s_waitcnt vmcnt(0)
	ds_load_u16 v74, v0 offset:4096
	scratch_load_b32 v0, off, off offset:1364 ; 4-byte Folded Reload
	s_waitcnt vmcnt(0) lgkmcnt(2)
	ds_load_u16_d16_hi v129, v0 offset:4096
	scratch_load_b32 v0, off, off offset:1060 ; 4-byte Folded Reload
	s_waitcnt vmcnt(0)
	ds_load_u16 v133, v0 offset:4096
	scratch_load_b32 v0, off, off offset:1356 ; 4-byte Folded Reload
	s_waitcnt vmcnt(0)
	ds_load_u16 v173, v0 offset:4096
	;; [unrolled: 3-line block ×5, first 2 shown]
	scratch_load_b32 v0, off, off offset:1312 ; 4-byte Folded Reload
	s_waitcnt vmcnt(0) lgkmcnt(4)
	ds_load_u16_d16_hi v133, v0 offset:4096
	scratch_load_b32 v0, off, off offset:1324 ; 4-byte Folded Reload
	s_waitcnt vmcnt(0)
	ds_load_u16 v79, v0 offset:4096
	scratch_load_b32 v0, off, off offset:1008 ; 4-byte Folded Reload
	s_waitcnt vmcnt(0)
	ds_load_u16 v135, v0 offset:4096
	;; [unrolled: 3-line block ×12, first 2 shown]
	scratch_load_b32 v0, off, off offset:1352 ; 4-byte Folded Reload
	s_waitcnt vmcnt(0) lgkmcnt(16)
	ds_load_u16_d16_hi v173, v0 offset:4096
	scratch_load_b32 v0, off, off offset:1172 ; 4-byte Folded Reload
	s_waitcnt vmcnt(0) lgkmcnt(16)
	ds_load_u16_d16_hi v172, v0 offset:4096
	scratch_load_b32 v0, off, off offset:1412 ; 4-byte Folded Reload
	s_waitcnt vmcnt(0)
	ds_load_u16 v175, v0 offset:4096
	scratch_load_b32 v0, off, off offset:1320 ; 4-byte Folded Reload
	s_waitcnt vmcnt(0) lgkmcnt(14)
	ds_load_u16_d16_hi v79, v0 offset:4096
	scratch_load_b32 v0, off, off offset:1336 ; 4-byte Folded Reload
	s_waitcnt vmcnt(0)
	ds_load_u16 v136, v0 offset:4096
	;; [unrolled: 6-line block ×3, first 2 shown]
	scratch_load_b32 v0, off, off offset:1472 ; 4-byte Folded Reload
	s_waitcnt vmcnt(0)
	ds_load_u16 v170, v0 offset:4096
	scratch_load_b32 v0, off, off offset:1132 ; 4-byte Folded Reload
	s_waitcnt vmcnt(0) lgkmcnt(16)
	ds_load_u16_d16_hi v137, v0 offset:4096
	scratch_load_b32 v0, off, off offset:1128 ; 4-byte Folded Reload
	s_waitcnt vmcnt(0)
	ds_load_u16 v138, v0 offset:4096
	scratch_load_b32 v0, off, off offset:1068 ; 4-byte Folded Reload
	s_waitcnt vmcnt(0)
	ds_load_u16_d16_hi v142, v0 offset:4096
	scratch_load_b32 v0, off, off offset:1416 ; 4-byte Folded Reload
	s_waitcnt vmcnt(0) lgkmcnt(15)
	ds_load_u16_d16_hi v174, v0 offset:4096
	scratch_load_b32 v0, off, off offset:1144 ; 4-byte Folded Reload
	s_waitcnt vmcnt(0)
	ds_load_u16_d16_hi v171, v0 offset:4096
	scratch_load_b32 v0, off, off offset:1368 ; 4-byte Folded Reload
	s_waitcnt vmcnt(0) lgkmcnt(15)
	ds_load_u16_d16_hi v141, v0 offset:4096
	scratch_load_b32 v0, off, off offset:1140 ; 4-byte Folded Reload
	s_waitcnt vmcnt(0)
	ds_load_u16_d16_hi v140, v0 offset:4096
	scratch_load_b32 v0, off, off offset:1164 ; 4-byte Folded Reload
	s_waitcnt vmcnt(0)
	;; [unrolled: 3-line block ×3, first 2 shown]
	ds_load_u16_d16_hi v143, v0 offset:4096
	scratch_load_b32 v0, off, off offset:1408 ; 4-byte Folded Reload
	s_waitcnt vmcnt(0) lgkmcnt(14)
	ds_load_u16_d16_hi v175, v0 offset:4096
	scratch_load_b32 v0, off, off offset:1400 ; 4-byte Folded Reload
	s_waitcnt vmcnt(0)
	ds_load_u16_d16_hi v144, v0 offset:4096
	scratch_load_b32 v0, off, off offset:1448 ; 4-byte Folded Reload
	s_waitcnt vmcnt(0)
	ds_load_u16_d16_hi v176, v0 offset:4096
	scratch_load_b32 v0, off, off offset:1120 ; 4-byte Folded Reload
	s_waitcnt vmcnt(0) lgkmcnt(13)
	ds_load_u16_d16_hi v169, v0 offset:4096
	scratch_load_b32 v0, off, off offset:1152 ; 4-byte Folded Reload
	s_waitcnt vmcnt(0) lgkmcnt(13)
	ds_load_u16_d16_hi v170, v0 offset:4096
	scratch_load_b32 v0, off, off offset:1116 ; 4-byte Folded Reload
	.loc	1 62 26                         ; attention_bwd.py:62:26 @[ attention_bwd.py:200:26 ]
	s_waitcnt lgkmcnt(0)
	v_wmma_f32_16x16x16_f16 v[193:200], v[169:176], v[118:125], v[193:200]
	v_wmma_f32_16x16x16_f16 v[161:168], v[169:176], v[110:117], v[161:168]
	v_dual_mov_b32 v169, v178 :: v_dual_mov_b32 v170, v179
	v_mov_b32_e32 v172, v181
	v_mov_b32_e32 v174, v183
	v_dual_mov_b32 v176, v185 :: v_dual_mov_b32 v171, v180
	v_mov_b32_e32 v173, v182
	v_mov_b32_e32 v175, v184
	.loc	1 58 21                         ; attention_bwd.py:58:21 @[ attention_bwd.py:200:26 ]
	s_waitcnt vmcnt(0)
	ds_load_u16_d16_hi v138, v0 offset:4096
	scratch_load_b32 v0, off, off offset:1040 ; 4-byte Folded Reload
	.loc	1 62 26                         ; attention_bwd.py:62:26 @[ attention_bwd.py:200:26 ]
	s_waitcnt lgkmcnt(0)
	v_wmma_f32_16x16x16_f16 v[53:60], v[137:144], v[118:125], v[53:60]
	.loc	1 61 21                         ; attention_bwd.py:61:21 @[ attention_bwd.py:200:26 ]
	v_perm_b32 v119, v206, v75, v250
	v_perm_b32 v118, v206, v75, v249
	;; [unrolled: 1-line block ×6, first 2 shown]
	.loc	1 62 26                         ; attention_bwd.py:62:26 @[ attention_bwd.py:200:26 ]
	v_wmma_f32_16x16x16_f16 v[169:176], v[137:144], v[110:117], v[169:176]
	.loc	1 61 21                         ; attention_bwd.py:61:21 @[ attention_bwd.py:200:26 ]
	v_perm_b32 v117, v108, v127, v250
	v_perm_b32 v116, v108, v127, v249
	;; [unrolled: 1-line block ×10, first 2 shown]
	.loc	1 58 21                         ; attention_bwd.py:58:21 @[ attention_bwd.py:200:26 ]
	s_waitcnt vmcnt(0)
	ds_load_u16 v145, v0 offset:4096
	scratch_load_b32 v0, off, off offset:992 ; 4-byte Folded Reload
	s_waitcnt vmcnt(0) lgkmcnt(0)
	ds_load_u16_d16_hi v145, v0 offset:4096
	scratch_load_b32 v0, off, off offset:1388 ; 4-byte Folded Reload
	s_waitcnt vmcnt(0)
	ds_load_u16 v75, v0 offset:4096
	scratch_load_b32 v0, off, off offset:1392 ; 4-byte Folded Reload
	s_waitcnt vmcnt(0)
	ds_load_u16_d16_hi v74, v0 offset:4096
	scratch_load_b32 v0, off, off offset:1436 ; 4-byte Folded Reload
	s_waitcnt vmcnt(0)
	ds_load_u16 v131, v0 offset:4096
	scratch_load_b32 v0, off, off offset:1004 ; 4-byte Folded Reload
	s_waitcnt vmcnt(0)
	ds_load_u16 v134, v0 offset:4096
	;; [unrolled: 3-line block ×4, first 2 shown]
	scratch_load_b32 v0, off, off offset:1384 ; 4-byte Folded Reload
	s_waitcnt vmcnt(0) lgkmcnt(5)
	ds_load_u16_d16_hi v75, v0 offset:4096
	scratch_load_b32 v0, off, off offset:1428 ; 4-byte Folded Reload
	s_waitcnt vmcnt(0) lgkmcnt(4)
	ds_load_u16_d16_hi v131, v0 offset:4096
	scratch_load_b32 v0, off, off offset:1056 ; 4-byte Folded Reload
	s_waitcnt vmcnt(0)
	ds_load_u16_d16_hi v77, v0 offset:4096
	scratch_load_b32 v0, off, off offset:1000 ; 4-byte Folded Reload
	s_waitcnt vmcnt(0) lgkmcnt(5)
	ds_load_u16_d16_hi v134, v0 offset:4096
	scratch_load_b32 v0, off, off offset:1328 ; 4-byte Folded Reload
	s_waitcnt vmcnt(0) lgkmcnt(5)
	ds_load_u16_d16_hi v78, v0 offset:4096
	scratch_load_b32 v0, off, off offset:1444 ; 4-byte Folded Reload
	s_waitcnt vmcnt(0)
	ds_load_u16_d16_hi v76, v0 offset:4096
	scratch_load_b32 v0, off, off offset:1012 ; 4-byte Folded Reload
	s_waitcnt vmcnt(0) lgkmcnt(6)
	ds_load_u16_d16_hi v80, v0 offset:4096
	scratch_load_b32 v0, off, off offset:1344 ; 4-byte Folded Reload
	.loc	1 62 26                         ; attention_bwd.py:62:26 @[ attention_bwd.py:200:26 ]
	s_waitcnt lgkmcnt(0)
	v_wmma_f32_16x16x16_f16 v[9:16], v[73:80], v[118:125], v[9:16]
	v_wmma_f32_16x16x16_f16 v[1:8], v[73:80], v[110:117], v[1:8]
	s_clause 0x1                            ; 32-byte Folded Spill
	scratch_store_b128 off, v[9:12], off
	scratch_store_b128 off, v[13:16], off offset:16
	.loc	1 58 21                         ; attention_bwd.py:58:21 @[ attention_bwd.py:200:26 ]
	s_waitcnt vmcnt(0)
	ds_load_u16 v130, v0 offset:4096
	scratch_load_b32 v0, off, off offset:1404 ; 4-byte Folded Reload
	s_waitcnt vmcnt(0)
	ds_load_u16 v132, v0 offset:4096
	scratch_load_b32 v0, off, off offset:1016 ; 4-byte Folded Reload
	s_waitcnt vmcnt(0) lgkmcnt(1)
	ds_load_u16_d16_hi v130, v0 offset:4096
	scratch_load_b32 v0, off, off offset:1380 ; 4-byte Folded Reload
	s_waitcnt vmcnt(0) lgkmcnt(1)
	ds_load_u16_d16_hi v132, v0 offset:4096
	scratch_load_b32 v0, off, off offset:1316 ; 4-byte Folded Reload
	s_waitcnt vmcnt(0)
	ds_load_u16_d16_hi v136, v0 offset:4096
	scratch_load_b32 v0, off, off offset:1276 ; 4-byte Folded Reload
	.loc	1 62 26                         ; attention_bwd.py:62:26 @[ attention_bwd.py:200:26 ]
	s_waitcnt lgkmcnt(0)
	v_wmma_f32_16x16x16_f16 v[61:68], v[129:136], v[110:117], v[61:68]
	s_clause 0x1                            ; 32-byte Folded Spill
	scratch_store_b128 off, v[61:64], off offset:32
	scratch_store_b128 off, v[65:68], off offset:48
	v_mov_b32_e32 v67, v19
	v_mov_b32_e32 v65, v17
	v_wmma_f32_16x16x16_f16 v[45:52], v[129:136], v[118:125], v[45:52]
	v_mov_b32_e32 v68, v20
	v_mov_b32_e32 v66, v18
	.loc	1 58 21                         ; attention_bwd.py:58:21 @[ attention_bwd.py:200:26 ]
	s_waitcnt vmcnt(0)
	ds_load_u16 v147, v0 offset:4096
	scratch_load_b32 v0, off, off offset:1032 ; 4-byte Folded Reload
	s_waitcnt vmcnt(0)
	ds_load_u16 v146, v0 offset:4096
	scratch_load_b32 v0, off, off offset:1052 ; 4-byte Folded Reload
	s_waitcnt vmcnt(0)
	ds_load_u16 v75, v0 offset:4096
	scratch_load_b32 v0, off, off offset:1036 ; 4-byte Folded Reload
	s_waitcnt vmcnt(0)
	ds_load_u16 v74, v0 offset:4096
	scratch_load_b32 v0, off, off offset:1284 ; 4-byte Folded Reload
	s_waitcnt vmcnt(0)
	ds_load_u16 v148, v0 offset:4096
	scratch_load_b32 v0, off, off offset:1260 ; 4-byte Folded Reload
	s_waitcnt vmcnt(0)
	ds_load_u16 v77, v0 offset:4096
	scratch_load_b32 v0, off, off offset:984 ; 4-byte Folded Reload
	s_waitcnt vmcnt(0)
	ds_load_u16 v149, v0 offset:4096
	scratch_load_b32 v0, off, off offset:1292 ; 4-byte Folded Reload
	s_waitcnt vmcnt(0)
	ds_load_u16 v76, v0 offset:4096
	scratch_load_b32 v0, off, off offset:976 ; 4-byte Folded Reload
	s_waitcnt vmcnt(0)
	ds_load_u16 v78, v0 offset:4096
	scratch_load_b32 v0, off, off offset:968 ; 4-byte Folded Reload
	s_waitcnt vmcnt(0)
	ds_load_u16 v150, v0 offset:4096
	scratch_load_b32 v0, off, off offset:1256 ; 4-byte Folded Reload
	s_waitcnt vmcnt(0)
	ds_load_u16 v79, v0 offset:4096
	scratch_load_b32 v0, off, off offset:1272 ; 4-byte Folded Reload
	s_waitcnt vmcnt(0)
	ds_load_u16 v151, v0 offset:4096
	scratch_load_b32 v0, off, off offset:1264 ; 4-byte Folded Reload
	s_waitcnt vmcnt(0)
	ds_load_u16 v152, v0 offset:4096
	scratch_load_b32 v0, off, off offset:1280 ; 4-byte Folded Reload
	s_waitcnt vmcnt(0) lgkmcnt(11)
	ds_load_u16_d16_hi v146, v0 offset:4096
	scratch_load_b32 v0, off, off offset:1304 ; 4-byte Folded Reload
	s_waitcnt vmcnt(0) lgkmcnt(11)
	ds_load_u16_d16_hi v75, v0 offset:4096
	scratch_load_b32 v0, off, off offset:1048 ; 4-byte Folded Reload
	s_waitcnt vmcnt(0)
	ds_load_u16_d16_hi v147, v0 offset:4096
	scratch_load_b32 v0, off, off offset:1028 ; 4-byte Folded Reload
	s_waitcnt vmcnt(0) lgkmcnt(12)
	ds_load_u16_d16_hi v74, v0 offset:4096
	scratch_load_b32 v0, off, off offset:1296 ; 4-byte Folded Reload
	s_waitcnt vmcnt(0) lgkmcnt(12)
	;; [unrolled: 3-line block ×9, first 2 shown]
	ds_load_u16_d16_hi v151, v0 offset:4096
	scratch_load_b32 v0, off, off offset:972 ; 4-byte Folded Reload
	s_waitcnt vmcnt(0)
	ds_load_u16 v80, v0 offset:4096
	scratch_load_b32 v0, off, off offset:1248 ; 4-byte Folded Reload
	s_waitcnt vmcnt(0) lgkmcnt(13)
	ds_load_u16_d16_hi v152, v0 offset:4096
	scratch_load_b32 v0, off, off offset:1240 ; 4-byte Folded Reload
	.loc	1 62 26                         ; attention_bwd.py:62:26 @[ attention_bwd.py:200:26 ]
	s_waitcnt lgkmcnt(0)
	v_wmma_f32_16x16x16_f16 v[193:200], v[145:152], v[118:125], v[193:200]
	v_wmma_f32_16x16x16_f16 v[161:168], v[145:152], v[110:117], v[161:168]
	v_dual_mov_b32 v151, v8 :: v_dual_mov_b32 v150, v7
	v_dual_mov_b32 v149, v6 :: v_dual_mov_b32 v148, v5
	;; [unrolled: 1-line block ×4, first 2 shown]
	.loc	1 58 21                         ; attention_bwd.py:58:21 @[ attention_bwd.py:200:26 ]
	s_waitcnt vmcnt(0)
	ds_load_u16_d16_hi v80, v0 offset:4096
	scratch_load_b32 v0, off, off offset:1300 ; 4-byte Folded Reload
	s_waitcnt vmcnt(0)
	ds_load_u16 v73, v0 offset:4096
	scratch_load_b32 v0, off, off offset:1288 ; 4-byte Folded Reload
	s_waitcnt vmcnt(0) lgkmcnt(0)
	ds_load_u16_d16_hi v73, v0 offset:4096
	.loc	1 62 26                         ; attention_bwd.py:62:26 @[ attention_bwd.py:200:26 ]
	s_waitcnt lgkmcnt(0)
	v_wmma_f32_16x16x16_f16 v[53:60], v[73:80], v[118:125], v[53:60]
	v_wmma_f32_16x16x16_f16 v[169:176], v[73:80], v[110:117], v[169:176]
	.loc	1 66 24                         ; attention_bwd.py:66:24 @[ attention_bwd.py:200:26 ]
	ds_load_b128 v[77:80], v128 offset:4208
	ds_load_b128 v[73:76], v128 offset:4192
	;; [unrolled: 1-line block ×4, first 2 shown]
	s_clause 0x2                            ; 36-byte Folded Reload
	scratch_load_b32 v128, off, off offset:240
	scratch_load_b128 v[0:3], off, off offset:1508
	scratch_load_b128 v[4:7], off, off offset:1524
	v_mov_b32_e32 v119, v109
	v_mov_b32_e32 v118, v253
	s_waitcnt vmcnt(0) lgkmcnt(2)
	v_wmma_f32_16x16x16_f16 v[233:240], v[73:80], v[0:7], v[233:240]
	s_waitcnt lgkmcnt(0)
	v_wmma_f32_16x16x16_f16 v[89:96], v[110:117], v[0:7], v[89:96]
	s_clause 0x1                            ; 32-byte Folded Reload
	scratch_load_b128 v[0:3], off, off offset:1476
	scratch_load_b128 v[4:7], off, off offset:1492
	s_waitcnt vmcnt(0)
	v_wmma_f32_16x16x16_f16 v[81:88], v[110:117], v[0:7], v[81:88]
	v_mov_b32_e32 v117, v177
	s_clause 0x3                            ; 16-byte Folded Reload
	scratch_load_b32 v111, off, off offset:232
	scratch_load_b32 v37, off, off offset:224
	;; [unrolled: 1-line block ×4, first 2 shown]
	v_wmma_f32_16x16x16_f16 v[97:104], v[73:80], v[0:7], v[97:104]
	v_dual_mov_b32 v116, v201 :: v_dual_mov_b32 v115, v202
	v_dual_mov_b32 v114, v205 :: v_dual_mov_b32 v113, v204
	v_mov_b32_e32 v112, v203
.LBB0_75:
	.loc	1 0 24 is_stmt 0                ; attention_bwd.py:0:24
	s_clause 0xf                            ; 64-byte Folded Reload
	scratch_load_b32 v16, off, off offset:1860
	scratch_load_b32 v64, off, off offset:960
	;; [unrolled: 1-line block ×16, first 2 shown]
	.loc	1 69 26 is_stmt 1               ; attention_bwd.py:69:26 @[ attention_bwd.py:200:26 ]
	s_and_b32 vcc_lo, exec_lo, s2
	.loc	1 67 26                         ; attention_bwd.py:67:26 @[ attention_bwd.py:200:26 ]
	s_waitcnt vmcnt(15)
	v_sub_f32_e32 v0, v233, v16
	s_waitcnt vmcnt(13)
	v_dual_sub_f32 v8, v89, v64 :: v_dual_sub_f32 v9, v90, v63
	s_waitcnt vmcnt(11)
	v_dual_sub_f32 v10, v91, v62 :: v_dual_sub_f32 v11, v92, v61
	;; [unrolled: 2-line block ×3, first 2 shown]
	s_waitcnt vmcnt(8)
	v_sub_f32_e32 v14, v95, v18
	v_sub_f32_e32 v16, v97, v16
	s_waitcnt vmcnt(5)
	v_dual_sub_f32 v80, v98, v207 :: v_dual_sub_f32 v75, v101, v204
	s_waitcnt vmcnt(4)
	v_dual_sub_f32 v4, v237, v204 :: v_dual_sub_f32 v5, v238, v203
	;; [unrolled: 2-line block ×4, first 2 shown]
	v_sub_f32_e32 v73, v99, v206
	v_dual_sub_f32 v76, v103, v202 :: v_dual_sub_f32 v81, v81, v64
	v_dual_sub_f32 v94, v104, v201 :: v_dual_sub_f32 v83, v83, v62
	;; [unrolled: 1-line block ×4, first 2 shown]
	v_sub_f32_e32 v1, v234, v207
	v_sub_f32_e32 v15, v96, v17
	v_dual_sub_f32 v92, v100, v205 :: v_dual_sub_f32 v93, v102, v203
	v_dual_sub_f32 v86, v86, v19 :: v_dual_sub_f32 v95, v88, v17
	.loc	1 68 21                         ; attention_bwd.py:68:21 @[ attention_bwd.py:200:26 ]
	v_fma_mixlo_f16 v96, v191, v0, 0
	v_fma_mixlo_f16 v97, v128, v2, 0
	;; [unrolled: 1-line block ×16, first 2 shown]
	v_fma_mixhi_f16 v96, v115, v1, 0
	v_fma_mixhi_f16 v97, v116, v3, 0
	;; [unrolled: 1-line block ×16, first 2 shown]
	v_permlanex16_b32 v100, v96, s1, 0xfedcba98 op_sel:[1,0]
	v_permlanex16_b32 v101, v97, s1, 0xfedcba98 op_sel:[1,0]
	;; [unrolled: 1-line block ×16, first 2 shown]
	s_cbranch_vccnz .LBB0_77
; %bb.76:
	.loc	1 0 21 is_stmt 0                ; attention_bwd.py:0:21
	s_clause 0xf                            ; 256-byte Folded Reload
	scratch_load_b128 v[134:137], off, off offset:312
	scratch_load_b128 v[138:141], off, off offset:328
	;; [unrolled: 1-line block ×16, first 2 shown]
	.loc	1 68 21                         ; attention_bwd.py:68:21 @[ attention_bwd.py:200:26 ]
	v_perm_b32 v72, v103, v99, v250
	v_perm_b32 v71, v103, v99, v249
	;; [unrolled: 1-line block ×6, first 2 shown]
	.loc	1 0 0                           ; attention_bwd.py:0 @[ attention_bwd.py:200:26 ]
	ds_load_b128 v[110:113], v254
	ds_load_b128 v[114:117], v254 offset:16
	.loc	1 68 21                         ; attention_bwd.py:68:21 @[ attention_bwd.py:200:26 ]
	v_perm_b32 v66, v100, v96, v250
	v_perm_b32 v65, v100, v96, v249
	.loc	1 0 0                           ; attention_bwd.py:0 @[ attention_bwd.py:200:26 ]
	ds_load_b128 v[96:99], v254 offset:1024
	ds_load_b128 v[100:103], v254 offset:1040
	;; [unrolled: 1-line block ×6, first 2 shown]
	.loc	1 69 26 is_stmt 1               ; attention_bwd.py:69:26 @[ attention_bwd.py:200:26 ]
	s_waitcnt vmcnt(14) lgkmcnt(6)
	v_wmma_f32_16x16x16_f16 v[134:141], v[110:117], v[65:72], v[134:141]
	s_waitcnt vmcnt(12) lgkmcnt(4)
	v_wmma_f32_16x16x16_f16 v[9:16], v[96:103], v[65:72], v[9:16]
	;; [unrolled: 2-line block ×4, first 2 shown]
	.loc	1 68 21                         ; attention_bwd.py:68:21 @[ attention_bwd.py:200:26 ]
	v_perm_b32 v72, v95, v91, v250
	v_perm_b32 v71, v95, v91, v249
	;; [unrolled: 1-line block ×8, first 2 shown]
	.loc	1 0 0 is_stmt 0                 ; attention_bwd.py:0 @[ attention_bwd.py:200:26 ]
	ds_load_b128 v[88:91], v254 offset:32
	ds_load_b128 v[92:95], v254 offset:48
	.loc	1 69 26 is_stmt 1               ; attention_bwd.py:69:26 @[ attention_bwd.py:200:26 ]
	s_waitcnt vmcnt(6)
	v_wmma_f32_16x16x16_f16 v[21:28], v[110:117], v[65:72], v[21:28]
	s_waitcnt vmcnt(4)
	v_wmma_f32_16x16x16_f16 v[177:184], v[96:103], v[65:72], v[177:184]
	;; [unrolled: 2-line block ×4, first 2 shown]
	.loc	1 0 0 is_stmt 0                 ; attention_bwd.py:0 @[ attention_bwd.py:200:26 ]
	ds_load_b128 v[65:68], v254 offset:1056
	ds_load_b128 v[69:72], v254 offset:1072
	.loc	1 68 21 is_stmt 1               ; attention_bwd.py:68:21 @[ attention_bwd.py:200:26 ]
	v_perm_b32 v103, v87, v79, v250
	v_perm_b32 v102, v87, v79, v249
	;; [unrolled: 1-line block ×16, first 2 shown]
	.loc	1 0 0 is_stmt 0                 ; attention_bwd.py:0 @[ attention_bwd.py:200:26 ]
	ds_load_b128 v[110:113], v254 offset:2080
	ds_load_b128 v[114:117], v254 offset:2096
	ds_load_b128 v[118:121], v254 offset:3104
	ds_load_b128 v[122:125], v254 offset:3120
	.loc	1 69 26 is_stmt 1               ; attention_bwd.py:69:26 @[ attention_bwd.py:200:26 ]
	s_waitcnt lgkmcnt(6)
	v_wmma_f32_16x16x16_f16 v[134:141], v[88:95], v[96:103], v[134:141]
	s_waitcnt lgkmcnt(4)
	v_wmma_f32_16x16x16_f16 v[9:16], v[65:72], v[96:103], v[9:16]
	v_wmma_f32_16x16x16_f16 v[177:184], v[65:72], v[80:87], v[177:184]
	s_clause 0x3                            ; 64-byte Folded Reload
	scratch_load_b128 v[217:220], off, off
	scratch_load_b128 v[221:224], off, off offset:16
	scratch_load_b128 v[65:68], off, off offset:32
	scratch_load_b128 v[69:72], off, off offset:48
	v_wmma_f32_16x16x16_f16 v[21:28], v[88:95], v[80:87], v[21:28]
	s_waitcnt lgkmcnt(2)
	v_wmma_f32_16x16x16_f16 v[37:44], v[110:117], v[96:103], v[37:44]
	s_waitcnt lgkmcnt(0)
	v_wmma_f32_16x16x16_f16 v[29:36], v[118:125], v[96:103], v[29:36]
	v_wmma_f32_16x16x16_f16 v[201:208], v[110:117], v[80:87], v[201:208]
	;; [unrolled: 1-line block ×3, first 2 shown]
	s_branch .LBB0_78
.Ltmp46:
.LBB0_77:
	.loc	1 0 26 is_stmt 0                ; attention_bwd.py:0:26
	v_dual_mov_b32 v176, v185 :: v_dual_mov_b32 v175, v184
	v_dual_mov_b32 v174, v183 :: v_dual_mov_b32 v173, v182
	;; [unrolled: 1-line block ×12, first 2 shown]
	s_clause 0xf                            ; 256-byte Folded Reload
	scratch_load_b128 v[1:4], off, off offset:248
	scratch_load_b128 v[5:8], off, off offset:264
	;; [unrolled: 1-line block ×16, first 2 shown]
	v_dual_mov_b32 v168, v248 :: v_dual_mov_b32 v167, v247
	v_dual_mov_b32 v166, v246 :: v_dual_mov_b32 v165, v245
	v_dual_mov_b32 v164, v244 :: v_dual_mov_b32 v163, v243
	v_dual_mov_b32 v162, v242 :: v_dual_mov_b32 v161, v241
	v_dual_mov_b32 v151, v160 :: v_dual_mov_b32 v150, v159
	v_dual_mov_b32 v149, v158 :: v_dual_mov_b32 v148, v157
	v_dual_mov_b32 v147, v156 :: v_dual_mov_b32 v146, v155
	v_dual_mov_b32 v145, v154 :: v_dual_mov_b32 v144, v153
	v_dual_mov_b32 v60, v232 :: v_dual_mov_b32 v59, v231
	v_dual_mov_b32 v58, v230 :: v_dual_mov_b32 v57, v229
	v_dual_mov_b32 v56, v228 :: v_dual_mov_b32 v55, v227
	v_dual_mov_b32 v54, v226 :: v_dual_mov_b32 v53, v225
	v_dual_mov_b32 v52, v216 :: v_dual_mov_b32 v51, v215
	v_dual_mov_b32 v50, v214 :: v_dual_mov_b32 v49, v213
	v_dual_mov_b32 v48, v212 :: v_dual_mov_b32 v47, v211
	v_dual_mov_b32 v46, v210 :: v_dual_mov_b32 v45, v209
.LBB0_78:                               ; %._crit_edge372
	s_delay_alu instid0(VALU_DEP_4)
	.loc	1 205 22 is_stmt 1              ; attention_bwd.py:205:22
	v_cvt_f16_f32_e32 v105, v51
	.loc	1 210 22                        ; attention_bwd.py:210:22
	s_waitcnt vmcnt(3)
	v_fma_mixlo_f16 v51, s0, v11, 0
	v_fma_mixlo_f16 v11, s0, v2, 0
	;; [unrolled: 1-line block ×3, first 2 shown]
	scratch_load_b32 v7, off, off offset:1764 ; 4-byte Folded Reload
	.loc	1 205 22                        ; attention_bwd.py:205:22
	v_cvt_f16_f32_e32 v107, v49
	v_cvt_f16_f32_e64 v0, v176
	.loc	1 210 22                        ; attention_bwd.py:210:22
	v_fma_mixlo_f16 v49, s0, v9, 0
	v_fma_mixlo_f16 v153, s0, v177, 0
	v_fma_mixlo_f16 v156, s0, v180, 0
	v_fma_mixlo_f16 v157, s0, v181, 0
	v_fma_mixlo_f16 v160, s0, v184, 0
	v_fma_mixlo_f16 v9, s0, v4, 0
	v_fma_mixlo_f16 v4, s0, v5, 0
	s_clause 0x2                            ; 24-byte Folded Reload
	scratch_load_b64 v[176:177], off, off offset:2120
	scratch_load_b64 v[180:181], off, off offset:2136
	;; [unrolled: 1-line block ×3, first 2 shown]
	.loc	1 205 22                        ; attention_bwd.py:205:22
	v_cvt_f16_f32_e32 v106, v50
	.loc	1 210 22                        ; attention_bwd.py:210:22
	v_fma_mixlo_f16 v50, s0, v10, 0
	v_fma_mixlo_f16 v10, s0, v3, 0
	;; [unrolled: 1-line block ×3, first 2 shown]
	.loc	1 205 22                        ; attention_bwd.py:205:22
	v_cvt_f16_f32_e64 v87, v161
	s_waitcnt vmcnt(5)
	v_cvt_f16_f32_e32 v79, v65
	v_cvt_f16_f32_e32 v78, v66
	v_cvt_f16_f32_e64 v66, v174
	v_cvt_f16_f32_e64 v65, v175
	v_cvt_f16_f32_e32 v113, v45
	v_cvt_f16_f32_e32 v112, v46
	;; [unrolled: 1-line block ×10, first 2 shown]
	v_cvt_f16_f32_e64 v95, v144
	v_cvt_f16_f32_e64 v92, v147
	;; [unrolled: 1-line block ×6, first 2 shown]
	.loc	1 210 22                        ; attention_bwd.py:210:22
	v_fma_mixlo_f16 v57, s0, v134, 0
	v_fma_mixlo_f16 v58, s0, v135, 0
	;; [unrolled: 1-line block ×4, first 2 shown]
	s_waitcnt vmcnt(4)
	v_fma_mixlo_f16 v61, s0, v138, 0
	v_fma_mixlo_f16 v62, s0, v139, 0
	;; [unrolled: 1-line block ×31, first 2 shown]
	.loc	1 205 22                        ; attention_bwd.py:205:22
	v_cvt_f16_f32_e32 v103, v53
	v_cvt_f16_f32_e32 v102, v54
	v_cvt_f16_f32_e64 v94, v145
	v_cvt_f16_f32_e64 v93, v146
	.loc	1 210 22                        ; attention_bwd.py:210:22
	v_fma_mixlo_f16 v53, s0, v13, 0
	v_fma_mixlo_f16 v54, s0, v14, 0
	v_fma_mixlo_f16 v145, s0, v21, 0
	v_fma_mixlo_f16 v146, s0, v22, 0
	v_fma_mixlo_f16 v154, s0, v178, 0
	v_fma_mixlo_f16 v155, s0, v179, 0
	v_fma_mixlo_f16 v158, s0, v182, 0
	v_fma_mixlo_f16 v159, s0, v183, 0
	v_fma_mixlo_f16 v22, s0, v201, 0
	v_fma_mixlo_f16 v21, s0, v202, 0
	v_fma_mixlo_f16 v20, s0, v203, 0
	v_fma_mixlo_f16 v19, s0, v204, 0
	v_fma_mixlo_f16 v18, s0, v205, 0
	v_fma_mixlo_f16 v17, s0, v206, 0
	v_fma_mixlo_f16 v14, s0, v207, 0
	v_fma_mixlo_f16 v13, s0, v208, 0
	.loc	1 153 10                        ; attention_bwd.py:153:10
	s_add_u32 s0, s46, s52
	s_addc_u32 s1, s47, s53
	.loc	1 154 10                        ; attention_bwd.py:154:10
	s_add_u32 s3, s64, s52
	.loc	1 205 22                        ; attention_bwd.py:205:22
	v_cvt_f16_f32_e64 v84, v164
	v_cvt_f16_f32_e64 v83, v165
	;; [unrolled: 1-line block ×3, first 2 shown]
	.loc	1 154 10                        ; attention_bwd.py:154:10
	s_addc_u32 s4, s65, s53
	.loc	1 205 22                        ; attention_bwd.py:205:22
	v_cvt_f16_f32_e64 v85, v163
	v_cvt_f16_f32_e64 v123, v217
	v_cvt_f16_f32_e32 v111, v47
	v_cvt_f16_f32_e64 v82, v166
	v_cvt_f16_f32_e64 v81, v167
	;; [unrolled: 1-line block ×4, first 2 shown]
	v_cvt_f16_f32_e32 v73, v71
	v_cvt_f16_f32_e64 v71, v169
	v_cvt_f16_f32_e64 v125, v219
	;; [unrolled: 1-line block ×7, first 2 shown]
	v_cvt_f16_f32_e32 v75, v69
	v_cvt_f16_f32_e32 v74, v70
	v_cvt_f16_f32_e64 v70, v170
	v_cvt_f16_f32_e64 v69, v171
	;; [unrolled: 1-line block ×10, first 2 shown]
	v_cvt_f16_f32_e32 v77, v67
	v_cvt_f16_f32_e32 v76, v68
	v_cvt_f16_f32_e64 v68, v172
	v_cvt_f16_f32_e64 v67, v173
	v_cvt_f16_f32_e32 v72, v72
	s_clause 0x1e                           ; 248-byte Folded Reload
	scratch_load_b64 v[186:187], off, off offset:2160
	scratch_load_b64 v[188:189], off, off offset:2168
	;; [unrolled: 1-line block ×31, first 2 shown]
	s_waitcnt vmcnt(34)
	v_dual_mov_b32 v108, v7 :: v_dual_and_b32 v5, 0x60, v7
	.loc	1 165 23                        ; attention_bwd.py:165:23
	v_and_b32_e32 v6, 15, v7
	s_delay_alu instid0(VALU_DEP_2) | instskip(NEXT) | instid1(VALU_DEP_1)
	.loc	1 165 36 is_stmt 0              ; attention_bwd.py:165:36
	v_lshrrev_b32_e32 v5, 1, v5
	.loc	1 165 23                        ; attention_bwd.py:165:23
	v_or3_b32 v161, v5, v6, s73
	s_delay_alu instid0(VALU_DEP_1) | instskip(NEXT) | instid1(VALU_DEP_1)
	.loc	1 171 38 is_stmt 1              ; attention_bwd.py:171:38
	v_mul_lo_u32 v5, s54, v161
	.loc	1 204 19                        ; attention_bwd.py:204:19
	v_ashrrev_i32_e32 v6, 31, v5
	s_delay_alu instid0(VALU_DEP_1) | instskip(SKIP_2) | instid1(VALU_DEP_1)
	v_lshlrev_b64 v[174:175], 1, v[5:6]
	.loc	1 171 69                        ; attention_bwd.py:171:69
	scratch_load_b32 v5, off, off offset:2508 ; 4-byte Folded Reload
	.loc	1 204 19                        ; attention_bwd.py:204:19
	v_add_co_u32 v162, vcc_lo, s3, v174
	v_add_co_ci_u32_e64 v163, null, s4, v175, vcc_lo
	.loc	1 171 69                        ; attention_bwd.py:171:69
	s_waitcnt vmcnt(0)
	v_mul_lo_u32 v5, s55, v5
	s_delay_alu instid0(VALU_DEP_1)
	v_mad_u64_u32 v[7:8], null, s55, 6, v[5:6]
	v_mad_u64_u32 v[15:16], null, s55, 10, v[5:6]
	;; [unrolled: 1-line block ×14, first 2 shown]
	.loc	1 204 50                        ; attention_bwd.py:204:50
	v_ashrrev_i32_e32 v6, 31, v5
	v_ashrrev_i32_e32 v8, 31, v7
	;; [unrolled: 1-line block ×5, first 2 shown]
	v_lshlrev_b64 v[164:165], 1, v[5:6]
	v_lshlrev_b64 v[168:169], 1, v[7:8]
	;; [unrolled: 1-line block ×5, first 2 shown]
	v_ashrrev_i32_e32 v28, 31, v27
	v_add_co_u32 v46, vcc_lo, v162, v164
	s_delay_alu instid0(VALU_DEP_1) | instskip(NEXT) | instid1(VALU_DEP_3)
	v_add_co_ci_u32_e64 v47, null, v163, v165, vcc_lo
	v_lshlrev_b64 v[27:28], 1, v[27:28]
	v_ashrrev_i32_e32 v30, 31, v29
	v_ashrrev_i32_e32 v32, 31, v31
	.loc	1 205 22                        ; attention_bwd.py:205:22
	global_store_b16 v[46:47], v123, off
	.loc	1 171 69                        ; attention_bwd.py:171:69
	v_lshl_add_u32 v46, s55, 1, v5
	.loc	1 204 50                        ; attention_bwd.py:204:50
	v_ashrrev_i32_e32 v34, 31, v33
	v_lshlrev_b64 v[29:30], 1, v[29:30]
	v_lshlrev_b64 v[31:32], 1, v[31:32]
	v_ashrrev_i32_e32 v36, 31, v35
	v_ashrrev_i32_e32 v47, 31, v46
	v_lshlrev_b64 v[33:34], 1, v[33:34]
	v_ashrrev_i32_e32 v38, 31, v37
	v_ashrrev_i32_e32 v40, 31, v39
	v_lshlrev_b64 v[35:36], 1, v[35:36]
	v_lshlrev_b64 v[166:167], 1, v[46:47]
	v_ashrrev_i32_e32 v42, 31, v41
	v_lshlrev_b64 v[37:38], 1, v[37:38]
	v_lshlrev_b64 v[39:40], 1, v[39:40]
	v_ashrrev_i32_e32 v44, 31, v43
	v_add_co_u32 v46, vcc_lo, v162, v166
	s_delay_alu instid0(VALU_DEP_1) | instskip(SKIP_1) | instid1(VALU_DEP_4)
	v_add_co_ci_u32_e64 v47, null, v163, v167, vcc_lo
	v_lshlrev_b64 v[41:42], 1, v[41:42]
	v_lshlrev_b64 v[43:44], 1, v[43:44]
	scratch_store_b64 off, v[37:38], off offset:2668 ; 8-byte Folded Spill
	.loc	1 205 22                        ; attention_bwd.py:205:22
	global_store_b16 v[46:47], v124, off
	.loc	1 171 69                        ; attention_bwd.py:171:69
	v_add_nc_u32_e32 v46, s80, v5
	s_clause 0x2                            ; 24-byte Folded Spill
	scratch_store_b64 off, v[39:40], off offset:2684
	scratch_store_b64 off, v[41:42], off offset:2700
	;; [unrolled: 1-line block ×3, first 2 shown]
	.loc	1 204 50                        ; attention_bwd.py:204:50
	v_ashrrev_i32_e32 v47, 31, v46
	s_delay_alu instid0(VALU_DEP_1) | instskip(NEXT) | instid1(VALU_DEP_1)
	v_lshlrev_b64 v[123:124], 1, v[46:47]
	v_add_co_u32 v46, vcc_lo, v162, v123
	s_delay_alu instid0(VALU_DEP_1) | instskip(SKIP_1) | instid1(VALU_DEP_1)
	v_add_co_ci_u32_e64 v47, null, v163, v124, vcc_lo
	v_add_co_u32 v6, vcc_lo, v162, v168
	v_add_co_ci_u32_e64 v7, null, v163, v169, vcc_lo
	.loc	1 205 22                        ; attention_bwd.py:205:22
	global_store_b16 v[46:47], v125, off
	.loc	1 204 50                        ; attention_bwd.py:204:50
	v_ashrrev_i32_e32 v46, 31, v45
	.loc	1 205 22                        ; attention_bwd.py:205:22
	global_store_b16 v[6:7], v126, off
	.loc	1 171 69                        ; attention_bwd.py:171:69
	v_add_nc_u32_e32 v6, s81, v5
	.loc	1 204 50                        ; attention_bwd.py:204:50
	v_lshlrev_b64 v[45:46], 1, v[45:46]
	s_delay_alu instid0(VALU_DEP_2) | instskip(SKIP_2) | instid1(VALU_DEP_1)
	v_ashrrev_i32_e32 v7, 31, v6
	scratch_store_b64 off, v[45:46], off offset:2732 ; 8-byte Folded Spill
	v_lshlrev_b64 v[125:126], 1, v[6:7]
	v_add_co_u32 v6, vcc_lo, v162, v125
	s_delay_alu instid0(VALU_DEP_1) | instskip(SKIP_2) | instid1(VALU_DEP_1)
	v_add_co_ci_u32_e64 v7, null, v163, v126, vcc_lo
	.loc	1 205 22                        ; attention_bwd.py:205:22
	global_store_b16 v[6:7], v127, off
	.loc	1 204 50                        ; attention_bwd.py:204:50
	v_add_co_u32 v6, vcc_lo, v162, v15
	v_add_co_ci_u32_e64 v7, null, v163, v16, vcc_lo
	.loc	1 205 22                        ; attention_bwd.py:205:22
	global_store_b16 v[6:7], v128, off
	.loc	1 171 69                        ; attention_bwd.py:171:69
	v_add_nc_u32_e32 v6, s82, v5
	s_delay_alu instid0(VALU_DEP_1) | instskip(NEXT) | instid1(VALU_DEP_1)
	.loc	1 204 50                        ; attention_bwd.py:204:50
	v_ashrrev_i32_e32 v7, 31, v6
	v_lshlrev_b64 v[127:128], 1, v[6:7]
	s_delay_alu instid0(VALU_DEP_1) | instskip(NEXT) | instid1(VALU_DEP_1)
	v_add_co_u32 v6, vcc_lo, v162, v127
	v_add_co_ci_u32_e64 v7, null, v163, v128, vcc_lo
	.loc	1 205 22                        ; attention_bwd.py:205:22
	global_store_b16 v[6:7], v129, off
	.loc	1 204 50                        ; attention_bwd.py:204:50
	v_add_co_u32 v6, vcc_lo, v162, v23
	s_delay_alu instid0(VALU_DEP_1) | instskip(SKIP_2) | instid1(VALU_DEP_1)
	v_add_co_ci_u32_e64 v7, null, v163, v24, vcc_lo
	.loc	1 205 22                        ; attention_bwd.py:205:22
	global_store_b16 v[6:7], v122, off
	.loc	1 171 69                        ; attention_bwd.py:171:69
	v_add_nc_u32_e32 v6, s83, v5
	.loc	1 204 50                        ; attention_bwd.py:204:50
	v_ashrrev_i32_e32 v7, 31, v6
	s_delay_alu instid0(VALU_DEP_1) | instskip(NEXT) | instid1(VALU_DEP_1)
	v_lshlrev_b64 v[170:171], 1, v[6:7]
	v_add_co_u32 v6, vcc_lo, v162, v170
	s_delay_alu instid0(VALU_DEP_1) | instskip(SKIP_2) | instid1(VALU_DEP_1)
	v_add_co_ci_u32_e64 v7, null, v163, v171, vcc_lo
	.loc	1 205 22                        ; attention_bwd.py:205:22
	global_store_b16 v[6:7], v121, off
	.loc	1 204 50                        ; attention_bwd.py:204:50
	v_add_co_u32 v6, vcc_lo, v162, v25
	v_add_co_ci_u32_e64 v7, null, v163, v26, vcc_lo
	.loc	1 205 22                        ; attention_bwd.py:205:22
	global_store_b16 v[6:7], v120, off
	.loc	1 171 69                        ; attention_bwd.py:171:69
	v_add_nc_u32_e32 v6, s84, v5
	s_delay_alu instid0(VALU_DEP_1) | instskip(NEXT) | instid1(VALU_DEP_1)
	.loc	1 204 50                        ; attention_bwd.py:204:50
	v_ashrrev_i32_e32 v7, 31, v6
	v_lshlrev_b64 v[120:121], 1, v[6:7]
	s_delay_alu instid0(VALU_DEP_1) | instskip(NEXT) | instid1(VALU_DEP_1)
	v_add_co_u32 v6, vcc_lo, v162, v120
	v_add_co_ci_u32_e64 v7, null, v163, v121, vcc_lo
	.loc	1 205 22                        ; attention_bwd.py:205:22
	global_store_b16 v[6:7], v119, off
	.loc	1 204 50                        ; attention_bwd.py:204:50
	v_add_co_u32 v6, vcc_lo, v162, v27
	s_delay_alu instid0(VALU_DEP_1) | instskip(SKIP_2) | instid1(VALU_DEP_1)
	v_add_co_ci_u32_e64 v7, null, v163, v28, vcc_lo
	.loc	1 205 22                        ; attention_bwd.py:205:22
	global_store_b16 v[6:7], v118, off
	.loc	1 171 69                        ; attention_bwd.py:171:69
	v_add_nc_u32_e32 v6, s85, v5
	.loc	1 204 50                        ; attention_bwd.py:204:50
	v_ashrrev_i32_e32 v7, 31, v6
	s_delay_alu instid0(VALU_DEP_1) | instskip(NEXT) | instid1(VALU_DEP_1)
	v_lshlrev_b64 v[118:119], 1, v[6:7]
	v_add_co_u32 v6, vcc_lo, v162, v118
	s_delay_alu instid0(VALU_DEP_1) | instskip(SKIP_3) | instid1(VALU_DEP_1)
	v_add_co_ci_u32_e64 v7, null, v163, v119, vcc_lo
	scratch_store_b64 off, v[118:119], off offset:2596 ; 8-byte Folded Spill
	.loc	1 205 22                        ; attention_bwd.py:205:22
	global_store_b16 v[6:7], v117, off
	.loc	1 204 50                        ; attention_bwd.py:204:50
	v_add_co_u32 v6, vcc_lo, v162, v29
	v_add_co_ci_u32_e64 v7, null, v163, v30, vcc_lo
	.loc	1 205 22                        ; attention_bwd.py:205:22
	global_store_b16 v[6:7], v116, off
	.loc	1 171 69                        ; attention_bwd.py:171:69
	v_add_nc_u32_e32 v6, s86, v5
	s_delay_alu instid0(VALU_DEP_1) | instskip(NEXT) | instid1(VALU_DEP_1)
	.loc	1 204 50                        ; attention_bwd.py:204:50
	v_ashrrev_i32_e32 v7, 31, v6
	v_lshlrev_b64 v[116:117], 1, v[6:7]
	s_delay_alu instid0(VALU_DEP_1) | instskip(NEXT) | instid1(VALU_DEP_1)
	v_add_co_u32 v6, vcc_lo, v162, v116
	v_add_co_ci_u32_e64 v7, null, v163, v117, vcc_lo
	scratch_store_b64 off, v[116:117], off offset:2612 ; 8-byte Folded Spill
	.loc	1 205 22                        ; attention_bwd.py:205:22
	global_store_b16 v[6:7], v115, off
	.loc	1 204 50                        ; attention_bwd.py:204:50
	v_add_co_u32 v6, vcc_lo, v162, v31
	s_delay_alu instid0(VALU_DEP_1) | instskip(SKIP_2) | instid1(VALU_DEP_1)
	v_add_co_ci_u32_e64 v7, null, v163, v32, vcc_lo
	.loc	1 205 22                        ; attention_bwd.py:205:22
	global_store_b16 v[6:7], v114, off
	.loc	1 171 69                        ; attention_bwd.py:171:69
	v_add_nc_u32_e32 v6, s87, v5
	.loc	1 204 50                        ; attention_bwd.py:204:50
	v_ashrrev_i32_e32 v7, 31, v6
	s_delay_alu instid0(VALU_DEP_1) | instskip(NEXT) | instid1(VALU_DEP_1)
	v_lshlrev_b64 v[114:115], 1, v[6:7]
	v_add_co_u32 v6, vcc_lo, v162, v114
	s_delay_alu instid0(VALU_DEP_1) | instskip(SKIP_3) | instid1(VALU_DEP_1)
	v_add_co_ci_u32_e64 v7, null, v163, v115, vcc_lo
	scratch_store_b64 off, v[114:115], off offset:2628 ; 8-byte Folded Spill
	.loc	1 205 22                        ; attention_bwd.py:205:22
	global_store_b16 v[6:7], v113, off
	.loc	1 204 50                        ; attention_bwd.py:204:50
	v_add_co_u32 v6, vcc_lo, v162, v33
	v_add_co_ci_u32_e64 v7, null, v163, v34, vcc_lo
	.loc	1 205 22                        ; attention_bwd.py:205:22
	global_store_b16 v[6:7], v112, off
	.loc	1 171 69                        ; attention_bwd.py:171:69
	v_add_nc_u32_e32 v6, s88, v5
	s_delay_alu instid0(VALU_DEP_1) | instskip(NEXT) | instid1(VALU_DEP_1)
	.loc	1 204 50                        ; attention_bwd.py:204:50
	v_ashrrev_i32_e32 v7, 31, v6
	v_lshlrev_b64 v[112:113], 1, v[6:7]
	s_delay_alu instid0(VALU_DEP_1) | instskip(NEXT) | instid1(VALU_DEP_1)
	v_add_co_u32 v6, vcc_lo, v162, v112
	v_add_co_ci_u32_e64 v7, null, v163, v113, vcc_lo
	scratch_store_b64 off, v[112:113], off offset:2644 ; 8-byte Folded Spill
	.loc	1 205 22                        ; attention_bwd.py:205:22
	global_store_b16 v[6:7], v111, off
	.loc	1 204 50                        ; attention_bwd.py:204:50
	v_add_co_u32 v6, vcc_lo, v162, v35
	s_delay_alu instid0(VALU_DEP_1) | instskip(SKIP_2) | instid1(VALU_DEP_1)
	v_add_co_ci_u32_e64 v7, null, v163, v36, vcc_lo
	.loc	1 205 22                        ; attention_bwd.py:205:22
	global_store_b16 v[6:7], v110, off
	.loc	1 171 69                        ; attention_bwd.py:171:69
	v_add_nc_u32_e32 v6, s89, v5
	.loc	1 204 50                        ; attention_bwd.py:204:50
	v_ashrrev_i32_e32 v7, 31, v6
	s_delay_alu instid0(VALU_DEP_1) | instskip(NEXT) | instid1(VALU_DEP_1)
	v_lshlrev_b64 v[110:111], 1, v[6:7]
	v_add_co_u32 v6, vcc_lo, v162, v110
	s_delay_alu instid0(VALU_DEP_1) | instskip(SKIP_2) | instid1(VALU_DEP_1)
	v_add_co_ci_u32_e64 v7, null, v163, v111, vcc_lo
	.loc	1 205 22                        ; attention_bwd.py:205:22
	global_store_b16 v[6:7], v107, off
	.loc	1 204 50                        ; attention_bwd.py:204:50
	v_add_co_u32 v6, vcc_lo, v162, v37
	v_add_co_ci_u32_e64 v7, null, v163, v38, vcc_lo
	.loc	1 205 22                        ; attention_bwd.py:205:22
	global_store_b16 v[6:7], v106, off
	.loc	1 171 69                        ; attention_bwd.py:171:69
	v_add_nc_u32_e32 v6, s90, v5
	s_delay_alu instid0(VALU_DEP_1) | instskip(NEXT) | instid1(VALU_DEP_1)
	.loc	1 204 50                        ; attention_bwd.py:204:50
	v_ashrrev_i32_e32 v7, 31, v6
	v_lshlrev_b64 v[106:107], 1, v[6:7]
	s_clause 0x1                            ; 16-byte Folded Spill
	scratch_store_b64 off, v[27:28], off offset:2588
	scratch_store_b64 off, v[106:107], off offset:2676
	v_add_co_u32 v6, vcc_lo, v162, v106
	s_delay_alu instid0(VALU_DEP_1) | instskip(SKIP_2) | instid1(VALU_DEP_1)
	v_add_co_ci_u32_e64 v7, null, v163, v107, vcc_lo
	.loc	1 205 22                        ; attention_bwd.py:205:22
	global_store_b16 v[6:7], v105, off
	.loc	1 204 50                        ; attention_bwd.py:204:50
	v_add_co_u32 v6, vcc_lo, v162, v39
	v_add_co_ci_u32_e64 v7, null, v163, v40, vcc_lo
	.loc	1 205 22                        ; attention_bwd.py:205:22
	global_store_b16 v[6:7], v104, off
	.loc	1 171 69                        ; attention_bwd.py:171:69
	v_add_nc_u32_e32 v6, s91, v5
	s_delay_alu instid0(VALU_DEP_1) | instskip(NEXT) | instid1(VALU_DEP_1)
	.loc	1 204 50                        ; attention_bwd.py:204:50
	v_ashrrev_i32_e32 v7, 31, v6
	v_lshlrev_b64 v[104:105], 1, v[6:7]
	s_clause 0x1                            ; 16-byte Folded Spill
	scratch_store_b64 off, v[29:30], off offset:2604
	scratch_store_b64 off, v[104:105], off offset:2692
	v_add_co_u32 v6, vcc_lo, v162, v104
	s_delay_alu instid0(VALU_DEP_1) | instskip(SKIP_2) | instid1(VALU_DEP_1)
	v_add_co_ci_u32_e64 v7, null, v163, v105, vcc_lo
	.loc	1 205 22                        ; attention_bwd.py:205:22
	global_store_b16 v[6:7], v103, off
	.loc	1 204 50                        ; attention_bwd.py:204:50
	v_add_co_u32 v6, vcc_lo, v162, v41
	v_add_co_ci_u32_e64 v7, null, v163, v42, vcc_lo
	.loc	1 205 22                        ; attention_bwd.py:205:22
	global_store_b16 v[6:7], v102, off
	.loc	1 171 69                        ; attention_bwd.py:171:69
	v_add_nc_u32_e32 v6, s92, v5
	s_delay_alu instid0(VALU_DEP_1) | instskip(NEXT) | instid1(VALU_DEP_1)
	.loc	1 204 50                        ; attention_bwd.py:204:50
	v_ashrrev_i32_e32 v7, 31, v6
	v_lshlrev_b64 v[102:103], 1, v[6:7]
	s_clause 0x1                            ; 16-byte Folded Spill
	scratch_store_b64 off, v[31:32], off offset:2620
	scratch_store_b64 off, v[102:103], off offset:2708
	v_add_co_u32 v6, vcc_lo, v162, v102
	s_delay_alu instid0(VALU_DEP_1) | instskip(SKIP_2) | instid1(VALU_DEP_1)
	v_add_co_ci_u32_e64 v7, null, v163, v103, vcc_lo
	.loc	1 205 22                        ; attention_bwd.py:205:22
	global_store_b16 v[6:7], v101, off
	.loc	1 204 50                        ; attention_bwd.py:204:50
	v_add_co_u32 v6, vcc_lo, v162, v43
	v_add_co_ci_u32_e64 v7, null, v163, v44, vcc_lo
	.loc	1 205 22                        ; attention_bwd.py:205:22
	global_store_b16 v[6:7], v100, off
	.loc	1 171 69                        ; attention_bwd.py:171:69
	v_add_nc_u32_e32 v6, s93, v5
	v_add_nc_u32_e32 v5, s94, v5
	s_delay_alu instid0(VALU_DEP_2) | instskip(NEXT) | instid1(VALU_DEP_1)
	.loc	1 204 50                        ; attention_bwd.py:204:50
	v_ashrrev_i32_e32 v7, 31, v6
	v_lshlrev_b64 v[100:101], 1, v[6:7]
	s_clause 0x1                            ; 16-byte Folded Spill
	scratch_store_b64 off, v[33:34], off offset:2636
	scratch_store_b64 off, v[100:101], off offset:2724
	v_add_co_u32 v6, vcc_lo, v162, v100
	s_delay_alu instid0(VALU_DEP_1) | instskip(SKIP_2) | instid1(VALU_DEP_1)
	v_add_co_ci_u32_e64 v7, null, v163, v101, vcc_lo
	.loc	1 205 22                        ; attention_bwd.py:205:22
	global_store_b16 v[6:7], v99, off
	.loc	1 204 50                        ; attention_bwd.py:204:50
	v_add_co_u32 v6, vcc_lo, v162, v45
	v_add_co_ci_u32_e64 v7, null, v163, v46, vcc_lo
	.loc	1 205 22                        ; attention_bwd.py:205:22
	global_store_b16 v[6:7], v98, off
	.loc	1 204 50                        ; attention_bwd.py:204:50
	v_ashrrev_i32_e32 v6, 31, v5
	s_delay_alu instid0(VALU_DEP_1) | instskip(SKIP_4) | instid1(VALU_DEP_1)
	v_lshlrev_b64 v[172:173], 1, v[5:6]
	s_clause 0x1                            ; 16-byte Folded Spill
	scratch_store_b64 off, v[110:111], off offset:2660
	scratch_store_b64 off, v[172:173], off offset:2748
	v_add_co_u32 v5, vcc_lo, v162, v172
	v_add_co_ci_u32_e64 v6, null, v163, v173, vcc_lo
	.loc	1 205 22                        ; attention_bwd.py:205:22
	global_store_b16 v[5:6], v97, off
	v_lshrrev_b32_e32 v5, 4, v108
	scratch_load_b64 v[108:109], off, off offset:2436 ; 8-byte Folded Reload
	.loc	1 171 58                        ; attention_bwd.py:171:58
	v_or_b32_e32 v5, 62, v5
	s_delay_alu instid0(VALU_DEP_1) | instskip(NEXT) | instid1(VALU_DEP_1)
	.loc	1 171 69 is_stmt 0              ; attention_bwd.py:171:69
	v_mul_lo_u32 v5, s55, v5
	.loc	1 204 50 is_stmt 1              ; attention_bwd.py:204:50
	v_ashrrev_i32_e32 v6, 31, v5
	s_delay_alu instid0(VALU_DEP_1) | instskip(SKIP_4) | instid1(VALU_DEP_1)
	v_lshlrev_b64 v[97:98], 1, v[5:6]
	s_clause 0x1                            ; 16-byte Folded Spill
	scratch_store_b64 off, v[35:36], off offset:2652
	scratch_store_b64 off, v[97:98], off offset:2740
	v_add_co_u32 v5, vcc_lo, v162, v97
	v_add_co_ci_u32_e64 v6, null, v163, v98, vcc_lo
	.loc	1 205 22                        ; attention_bwd.py:205:22
	global_store_b16 v[5:6], v96, off
	.loc	1 165 23                        ; attention_bwd.py:165:23
	v_or_b32_e32 v5, 64, v161
	s_delay_alu instid0(VALU_DEP_1) | instskip(NEXT) | instid1(VALU_DEP_1)
	.loc	1 171 38                        ; attention_bwd.py:171:38
	v_mul_lo_u32 v5, s54, v5
	.loc	1 204 19                        ; attention_bwd.py:204:19
	v_ashrrev_i32_e32 v6, 31, v5
	s_delay_alu instid0(VALU_DEP_1) | instskip(NEXT) | instid1(VALU_DEP_1)
	v_lshlrev_b64 v[161:162], 1, v[5:6]
	v_add_co_u32 v7, vcc_lo, s3, v161
	s_delay_alu instid0(VALU_DEP_1) | instskip(SKIP_2) | instid1(VALU_DEP_1)
	v_add_co_ci_u32_e64 v8, null, s4, v162, vcc_lo
	scratch_store_b64 off, v[161:162], off offset:2764 ; 8-byte Folded Spill
	.loc	1 204 50 is_stmt 0              ; attention_bwd.py:204:50
	v_add_co_u32 v5, vcc_lo, v7, v164
	v_add_co_ci_u32_e64 v6, null, v8, v165, vcc_lo
	.loc	1 205 22 is_stmt 1              ; attention_bwd.py:205:22
	global_store_b16 v[5:6], v95, off
	.loc	1 204 50                        ; attention_bwd.py:204:50
	v_add_co_u32 v5, vcc_lo, v7, v166
	s_delay_alu instid0(VALU_DEP_1) | instskip(SKIP_2) | instid1(VALU_DEP_1)
	v_add_co_ci_u32_e64 v6, null, v8, v167, vcc_lo
	.loc	1 205 22                        ; attention_bwd.py:205:22
	global_store_b16 v[5:6], v94, off
	.loc	1 204 50                        ; attention_bwd.py:204:50
	v_add_co_u32 v5, vcc_lo, v7, v123
	v_add_co_ci_u32_e64 v6, null, v8, v124, vcc_lo
	.loc	1 205 22                        ; attention_bwd.py:205:22
	global_store_b16 v[5:6], v93, off
	.loc	1 204 50                        ; attention_bwd.py:204:50
	v_add_co_u32 v5, vcc_lo, v7, v168
	s_delay_alu instid0(VALU_DEP_1) | instskip(SKIP_2) | instid1(VALU_DEP_1)
	v_add_co_ci_u32_e64 v6, null, v8, v169, vcc_lo
	.loc	1 205 22                        ; attention_bwd.py:205:22
	global_store_b16 v[5:6], v92, off
	.loc	1 204 50                        ; attention_bwd.py:204:50
	v_add_co_u32 v5, vcc_lo, v7, v125
	v_add_co_ci_u32_e64 v6, null, v8, v126, vcc_lo
	.loc	1 205 22                        ; attention_bwd.py:205:22
	global_store_b16 v[5:6], v91, off
	.loc	1 204 50                        ; attention_bwd.py:204:50
	v_add_co_u32 v5, vcc_lo, v7, v15
	s_delay_alu instid0(VALU_DEP_1) | instskip(SKIP_2) | instid1(VALU_DEP_1)
	v_add_co_ci_u32_e64 v6, null, v8, v16, vcc_lo
	.loc	1 205 22                        ; attention_bwd.py:205:22
	global_store_b16 v[5:6], v90, off
	.loc	1 204 50                        ; attention_bwd.py:204:50
	v_add_co_u32 v5, vcc_lo, v7, v127
	v_add_co_ci_u32_e64 v6, null, v8, v128, vcc_lo
	.loc	1 205 22                        ; attention_bwd.py:205:22
	global_store_b16 v[5:6], v89, off
	.loc	1 204 50                        ; attention_bwd.py:204:50
	v_add_co_u32 v5, vcc_lo, v7, v23
	s_delay_alu instid0(VALU_DEP_1) | instskip(SKIP_2) | instid1(VALU_DEP_1)
	v_add_co_ci_u32_e64 v6, null, v8, v24, vcc_lo
	.loc	1 205 22                        ; attention_bwd.py:205:22
	global_store_b16 v[5:6], v88, off
	.loc	1 204 50                        ; attention_bwd.py:204:50
	v_add_co_u32 v5, vcc_lo, v7, v170
	v_add_co_ci_u32_e64 v6, null, v8, v171, vcc_lo
	.loc	1 205 22                        ; attention_bwd.py:205:22
	global_store_b16 v[5:6], v87, off
	.loc	1 204 50                        ; attention_bwd.py:204:50
	v_add_co_u32 v5, vcc_lo, v7, v25
	s_delay_alu instid0(VALU_DEP_1) | instskip(SKIP_2) | instid1(VALU_DEP_1)
	v_add_co_ci_u32_e64 v6, null, v8, v26, vcc_lo
	.loc	1 205 22                        ; attention_bwd.py:205:22
	global_store_b16 v[5:6], v86, off
	.loc	1 204 50                        ; attention_bwd.py:204:50
	v_add_co_u32 v5, vcc_lo, v7, v120
	v_add_co_ci_u32_e64 v6, null, v8, v121, vcc_lo
	.loc	1 205 22                        ; attention_bwd.py:205:22
	global_store_b16 v[5:6], v85, off
	.loc	1 204 50                        ; attention_bwd.py:204:50
	v_add_co_u32 v5, vcc_lo, v7, v27
	s_delay_alu instid0(VALU_DEP_1) | instskip(SKIP_2) | instid1(VALU_DEP_1)
	v_add_co_ci_u32_e64 v6, null, v8, v28, vcc_lo
	.loc	1 205 22                        ; attention_bwd.py:205:22
	global_store_b16 v[5:6], v84, off
	.loc	1 204 50                        ; attention_bwd.py:204:50
	v_add_co_u32 v5, vcc_lo, v7, v118
	v_add_co_ci_u32_e64 v6, null, v8, v119, vcc_lo
	.loc	1 205 22                        ; attention_bwd.py:205:22
	global_store_b16 v[5:6], v83, off
	.loc	1 204 50                        ; attention_bwd.py:204:50
	v_add_co_u32 v5, vcc_lo, v7, v29
	s_delay_alu instid0(VALU_DEP_1) | instskip(SKIP_2) | instid1(VALU_DEP_1)
	v_add_co_ci_u32_e64 v6, null, v8, v30, vcc_lo
	.loc	1 205 22                        ; attention_bwd.py:205:22
	global_store_b16 v[5:6], v82, off
	.loc	1 204 50                        ; attention_bwd.py:204:50
	v_add_co_u32 v5, vcc_lo, v7, v116
	v_add_co_ci_u32_e64 v6, null, v8, v117, vcc_lo
	.loc	1 205 22                        ; attention_bwd.py:205:22
	global_store_b16 v[5:6], v81, off
	.loc	1 204 50                        ; attention_bwd.py:204:50
	v_add_co_u32 v5, vcc_lo, v7, v31
	s_delay_alu instid0(VALU_DEP_1) | instskip(SKIP_2) | instid1(VALU_DEP_1)
	v_add_co_ci_u32_e64 v6, null, v8, v32, vcc_lo
	.loc	1 205 22                        ; attention_bwd.py:205:22
	global_store_b16 v[5:6], v80, off
	.loc	1 204 50                        ; attention_bwd.py:204:50
	v_add_co_u32 v5, vcc_lo, v7, v114
	v_add_co_ci_u32_e64 v6, null, v8, v115, vcc_lo
	.loc	1 205 22                        ; attention_bwd.py:205:22
	global_store_b16 v[5:6], v79, off
	.loc	1 204 50                        ; attention_bwd.py:204:50
	v_add_co_u32 v5, vcc_lo, v7, v33
	s_delay_alu instid0(VALU_DEP_1) | instskip(SKIP_2) | instid1(VALU_DEP_1)
	v_add_co_ci_u32_e64 v6, null, v8, v34, vcc_lo
	.loc	1 205 22                        ; attention_bwd.py:205:22
	global_store_b16 v[5:6], v78, off
	.loc	1 204 50                        ; attention_bwd.py:204:50
	v_add_co_u32 v5, vcc_lo, v7, v112
	v_add_co_ci_u32_e64 v6, null, v8, v113, vcc_lo
	.loc	1 205 22                        ; attention_bwd.py:205:22
	global_store_b16 v[5:6], v77, off
	.loc	1 204 50                        ; attention_bwd.py:204:50
	v_add_co_u32 v5, vcc_lo, v7, v35
	s_delay_alu instid0(VALU_DEP_1) | instskip(SKIP_2) | instid1(VALU_DEP_1)
	v_add_co_ci_u32_e64 v6, null, v8, v36, vcc_lo
	.loc	1 205 22                        ; attention_bwd.py:205:22
	global_store_b16 v[5:6], v76, off
	.loc	1 204 50                        ; attention_bwd.py:204:50
	v_add_co_u32 v5, vcc_lo, v7, v110
	v_add_co_ci_u32_e64 v6, null, v8, v111, vcc_lo
	.loc	1 205 22                        ; attention_bwd.py:205:22
	global_store_b16 v[5:6], v75, off
	.loc	1 204 50                        ; attention_bwd.py:204:50
	v_add_co_u32 v5, vcc_lo, v7, v37
	s_delay_alu instid0(VALU_DEP_1) | instskip(SKIP_2) | instid1(VALU_DEP_1)
	v_add_co_ci_u32_e64 v6, null, v8, v38, vcc_lo
	.loc	1 205 22                        ; attention_bwd.py:205:22
	global_store_b16 v[5:6], v74, off
	.loc	1 204 50                        ; attention_bwd.py:204:50
	v_add_co_u32 v5, vcc_lo, v7, v106
	v_add_co_ci_u32_e64 v6, null, v8, v107, vcc_lo
	.loc	1 205 22                        ; attention_bwd.py:205:22
	global_store_b16 v[5:6], v73, off
	.loc	1 204 50                        ; attention_bwd.py:204:50
	v_add_co_u32 v5, vcc_lo, v7, v39
	s_delay_alu instid0(VALU_DEP_1) | instskip(SKIP_2) | instid1(VALU_DEP_1)
	v_add_co_ci_u32_e64 v6, null, v8, v40, vcc_lo
	.loc	1 205 22                        ; attention_bwd.py:205:22
	global_store_b16 v[5:6], v72, off
	.loc	1 204 50                        ; attention_bwd.py:204:50
	v_add_co_u32 v5, vcc_lo, v7, v104
	v_add_co_ci_u32_e64 v6, null, v8, v105, vcc_lo
	.loc	1 205 22                        ; attention_bwd.py:205:22
	global_store_b16 v[5:6], v71, off
	.loc	1 204 50                        ; attention_bwd.py:204:50
	v_add_co_u32 v5, vcc_lo, v7, v41
	s_delay_alu instid0(VALU_DEP_1) | instskip(SKIP_2) | instid1(VALU_DEP_1)
	v_add_co_ci_u32_e64 v6, null, v8, v42, vcc_lo
	.loc	1 205 22                        ; attention_bwd.py:205:22
	global_store_b16 v[5:6], v70, off
	.loc	1 204 50                        ; attention_bwd.py:204:50
	v_add_co_u32 v5, vcc_lo, v7, v102
	v_add_co_ci_u32_e64 v6, null, v8, v103, vcc_lo
	.loc	1 205 22                        ; attention_bwd.py:205:22
	global_store_b16 v[5:6], v69, off
	.loc	1 204 50                        ; attention_bwd.py:204:50
	v_add_co_u32 v5, vcc_lo, v7, v43
	s_delay_alu instid0(VALU_DEP_1) | instskip(SKIP_2) | instid1(VALU_DEP_1)
	v_add_co_ci_u32_e64 v6, null, v8, v44, vcc_lo
	.loc	1 205 22                        ; attention_bwd.py:205:22
	global_store_b16 v[5:6], v68, off
	.loc	1 204 50                        ; attention_bwd.py:204:50
	v_add_co_u32 v5, vcc_lo, v7, v100
	v_add_co_ci_u32_e64 v6, null, v8, v101, vcc_lo
	.loc	1 205 22                        ; attention_bwd.py:205:22
	global_store_b16 v[5:6], v67, off
	.loc	1 204 50                        ; attention_bwd.py:204:50
	v_add_co_u32 v5, vcc_lo, v7, v45
	s_delay_alu instid0(VALU_DEP_1) | instskip(SKIP_2) | instid1(VALU_DEP_1)
	v_add_co_ci_u32_e64 v6, null, v8, v46, vcc_lo
	.loc	1 205 22                        ; attention_bwd.py:205:22
	global_store_b16 v[5:6], v66, off
	.loc	1 204 50                        ; attention_bwd.py:204:50
	v_add_co_u32 v5, vcc_lo, v7, v172
	v_add_co_ci_u32_e64 v6, null, v8, v173, vcc_lo
	.loc	1 205 22                        ; attention_bwd.py:205:22
	global_store_b16 v[5:6], v65, off
	.loc	1 204 50                        ; attention_bwd.py:204:50
	v_add_co_u32 v5, vcc_lo, v7, v97
	s_delay_alu instid0(VALU_DEP_1) | instskip(SKIP_2) | instid1(VALU_DEP_1)
	v_add_co_ci_u32_e64 v6, null, v8, v98, vcc_lo
	.loc	1 205 22                        ; attention_bwd.py:205:22
	global_store_b16 v[5:6], v0, off
	.loc	1 209 19                        ; attention_bwd.py:209:19
	v_add_co_u32 v0, vcc_lo, s0, v174
	v_add_co_ci_u32_e64 v7, null, s1, v175, vcc_lo
	s_delay_alu instid0(VALU_DEP_2) | instskip(NEXT) | instid1(VALU_DEP_1)
	.loc	1 209 50 is_stmt 0              ; attention_bwd.py:209:50
	v_add_co_u32 v5, vcc_lo, v0, v164
	v_add_co_ci_u32_e64 v6, null, v7, v165, vcc_lo
	.loc	1 210 22 is_stmt 1              ; attention_bwd.py:210:22
	global_store_b16 v[5:6], v57, off
	.loc	1 209 50                        ; attention_bwd.py:209:50
	v_add_co_u32 v5, vcc_lo, v0, v166
	s_delay_alu instid0(VALU_DEP_1) | instskip(SKIP_2) | instid1(VALU_DEP_1)
	v_add_co_ci_u32_e64 v6, null, v7, v167, vcc_lo
	.loc	1 210 22                        ; attention_bwd.py:210:22
	global_store_b16 v[5:6], v58, off
	.loc	1 209 50                        ; attention_bwd.py:209:50
	v_add_co_u32 v5, vcc_lo, v0, v123
	v_add_co_ci_u32_e64 v6, null, v7, v124, vcc_lo
	.loc	1 210 22                        ; attention_bwd.py:210:22
	global_store_b16 v[5:6], v59, off
	.loc	1 209 50                        ; attention_bwd.py:209:50
	v_add_co_u32 v5, vcc_lo, v0, v168
	s_delay_alu instid0(VALU_DEP_1) | instskip(SKIP_2) | instid1(VALU_DEP_1)
	v_add_co_ci_u32_e64 v6, null, v7, v169, vcc_lo
	.loc	1 210 22                        ; attention_bwd.py:210:22
	global_store_b16 v[5:6], v60, off
	.loc	1 209 50                        ; attention_bwd.py:209:50
	v_add_co_u32 v5, vcc_lo, v0, v125
	v_add_co_ci_u32_e64 v6, null, v7, v126, vcc_lo
	.loc	1 210 22                        ; attention_bwd.py:210:22
	;; [unrolled: 11-line block ×12, first 2 shown]
	global_store_b16 v[5:6], v137, off
	.loc	1 209 50                        ; attention_bwd.py:209:50
	v_add_co_u32 v5, vcc_lo, v0, v41
	s_delay_alu instid0(VALU_DEP_1) | instskip(SKIP_3) | instid1(VALU_DEP_1)
	v_add_co_ci_u32_e64 v6, null, v7, v42, vcc_lo
	scratch_load_b64 v[136:137], off, off offset:1880 ; 8-byte Folded Reload
	.loc	1 210 22                        ; attention_bwd.py:210:22
	global_store_b16 v[5:6], v138, off
	.loc	1 209 50                        ; attention_bwd.py:209:50
	v_add_co_u32 v5, vcc_lo, v0, v102
	v_add_co_ci_u32_e64 v6, null, v7, v103, vcc_lo
	.loc	1 210 22                        ; attention_bwd.py:210:22
	global_store_b16 v[5:6], v139, off
	.loc	1 209 50                        ; attention_bwd.py:209:50
	v_add_co_u32 v5, vcc_lo, v0, v43
	s_delay_alu instid0(VALU_DEP_1) | instskip(SKIP_3) | instid1(VALU_DEP_1)
	v_add_co_ci_u32_e64 v6, null, v7, v44, vcc_lo
	scratch_load_b64 v[138:139], off, off offset:1812 ; 8-byte Folded Reload
	.loc	1 210 22                        ; attention_bwd.py:210:22
	global_store_b16 v[5:6], v140, off
	.loc	1 209 50                        ; attention_bwd.py:209:50
	v_add_co_u32 v5, vcc_lo, v0, v100
	v_add_co_ci_u32_e64 v6, null, v7, v101, vcc_lo
	.loc	1 210 22                        ; attention_bwd.py:210:22
	;; [unrolled: 12-line block ×3, first 2 shown]
	global_store_b16 v[5:6], v143, off
	.loc	1 209 50                        ; attention_bwd.py:209:50
	v_add_co_u32 v5, vcc_lo, v0, v97
	s_delay_alu instid0(VALU_DEP_1) | instskip(SKIP_1) | instid1(VALU_DEP_1)
	v_add_co_ci_u32_e64 v6, null, v7, v98, vcc_lo
	.loc	1 209 19 is_stmt 0              ; attention_bwd.py:209:19
	v_add_co_u32 v0, vcc_lo, s0, v161
	v_add_co_ci_u32_e64 v7, null, s1, v162, vcc_lo
	.loc	1 210 22 is_stmt 1              ; attention_bwd.py:210:22
	global_store_b16 v[5:6], v144, off
	.loc	1 209 50                        ; attention_bwd.py:209:50
	v_add_co_u32 v5, vcc_lo, v0, v164
	s_delay_alu instid0(VALU_DEP_1)
	v_add_co_ci_u32_e64 v6, null, v7, v165, vcc_lo
	s_clause 0x1                            ; 16-byte Folded Reload
	scratch_load_b64 v[142:143], off, off offset:1844
	scratch_load_b64 v[162:163], off, off offset:1928
	.loc	1 210 22                        ; attention_bwd.py:210:22
	global_store_b16 v[5:6], v145, off
	.loc	1 209 50                        ; attention_bwd.py:209:50
	v_add_co_u32 v5, vcc_lo, v0, v166
	s_delay_alu instid0(VALU_DEP_1) | instskip(SKIP_3) | instid1(VALU_DEP_1)
	v_add_co_ci_u32_e64 v6, null, v7, v167, vcc_lo
	scratch_load_b64 v[144:145], off, off offset:1852 ; 8-byte Folded Reload
	.loc	1 210 22                        ; attention_bwd.py:210:22
	global_store_b16 v[5:6], v146, off
	.loc	1 209 50                        ; attention_bwd.py:209:50
	v_add_co_u32 v5, vcc_lo, v0, v123
	v_add_co_ci_u32_e64 v6, null, v7, v124, vcc_lo
	.loc	1 210 22                        ; attention_bwd.py:210:22
	global_store_b16 v[5:6], v147, off
	.loc	1 209 50                        ; attention_bwd.py:209:50
	v_add_co_u32 v5, vcc_lo, v0, v168
	s_delay_alu instid0(VALU_DEP_1) | instskip(SKIP_3) | instid1(VALU_DEP_1)
	v_add_co_ci_u32_e64 v6, null, v7, v169, vcc_lo
	scratch_load_b64 v[146:147], off, off offset:2496 ; 8-byte Folded Reload
	.loc	1 210 22                        ; attention_bwd.py:210:22
	global_store_b16 v[5:6], v148, off
	.loc	1 209 50                        ; attention_bwd.py:209:50
	v_add_co_u32 v5, vcc_lo, v0, v125
	v_add_co_ci_u32_e64 v6, null, v7, v126, vcc_lo
	;; [unrolled: 12-line block ×5, first 2 shown]
	.loc	1 210 22                        ; attention_bwd.py:210:22
	global_store_b16 v[5:6], v155, off
	.loc	1 209 50                        ; attention_bwd.py:209:50
	v_add_co_u32 v5, vcc_lo, v0, v27
	s_delay_alu instid0(VALU_DEP_1) | instskip(SKIP_2) | instid1(VALU_DEP_1)
	v_add_co_ci_u32_e64 v6, null, v7, v28, vcc_lo
	.loc	1 210 22                        ; attention_bwd.py:210:22
	global_store_b16 v[5:6], v156, off
	.loc	1 209 50                        ; attention_bwd.py:209:50
	v_add_co_u32 v5, vcc_lo, v0, v118
	v_add_co_ci_u32_e64 v6, null, v7, v119, vcc_lo
	.loc	1 210 22                        ; attention_bwd.py:210:22
	global_store_b16 v[5:6], v157, off
	.loc	1 209 50                        ; attention_bwd.py:209:50
	v_add_co_u32 v5, vcc_lo, v0, v29
	s_delay_alu instid0(VALU_DEP_1) | instskip(SKIP_3) | instid1(VALU_DEP_1)
	v_add_co_ci_u32_e64 v6, null, v7, v30, vcc_lo
	scratch_load_b64 v[156:157], off, off offset:1912 ; 8-byte Folded Reload
	.loc	1 210 22                        ; attention_bwd.py:210:22
	global_store_b16 v[5:6], v158, off
	.loc	1 209 50                        ; attention_bwd.py:209:50
	v_add_co_u32 v5, vcc_lo, v0, v116
	v_add_co_ci_u32_e64 v6, null, v7, v117, vcc_lo
	.loc	1 210 22                        ; attention_bwd.py:210:22
	global_store_b16 v[5:6], v159, off
	.loc	1 209 50                        ; attention_bwd.py:209:50
	v_add_co_u32 v5, vcc_lo, v0, v31
	s_delay_alu instid0(VALU_DEP_1) | instskip(SKIP_3) | instid1(VALU_DEP_1)
	v_add_co_ci_u32_e64 v6, null, v7, v32, vcc_lo
	scratch_load_b64 v[158:159], off, off offset:1920 ; 8-byte Folded Reload
	.loc	1 210 22                        ; attention_bwd.py:210:22
	global_store_b16 v[5:6], v160, off
	.loc	1 209 50                        ; attention_bwd.py:209:50
	v_add_co_u32 v5, vcc_lo, v0, v114
	v_add_co_ci_u32_e64 v6, null, v7, v115, vcc_lo
	.loc	1 210 22                        ; attention_bwd.py:210:22
	global_store_b16 v[5:6], v22, off
	.loc	1 209 50                        ; attention_bwd.py:209:50
	v_add_co_u32 v5, vcc_lo, v0, v33
	s_delay_alu instid0(VALU_DEP_1) | instskip(SKIP_2) | instid1(VALU_DEP_1)
	v_add_co_ci_u32_e64 v6, null, v7, v34, vcc_lo
	.loc	1 210 22                        ; attention_bwd.py:210:22
	global_store_b16 v[5:6], v21, off
	.loc	1 209 50                        ; attention_bwd.py:209:50
	v_add_co_u32 v5, vcc_lo, v0, v112
	v_add_co_ci_u32_e64 v6, null, v7, v113, vcc_lo
	.loc	1 210 22                        ; attention_bwd.py:210:22
	global_store_b16 v[5:6], v20, off
	.loc	1 209 50                        ; attention_bwd.py:209:50
	v_add_co_u32 v5, vcc_lo, v0, v35
	s_delay_alu instid0(VALU_DEP_1) | instskip(SKIP_2) | instid1(VALU_DEP_1)
	v_add_co_ci_u32_e64 v6, null, v7, v36, vcc_lo
	.loc	1 210 22                        ; attention_bwd.py:210:22
	global_store_b16 v[5:6], v19, off
	.loc	1 209 50                        ; attention_bwd.py:209:50
	v_add_co_u32 v5, vcc_lo, v0, v110
	v_add_co_ci_u32_e64 v6, null, v7, v111, vcc_lo
	s_clause 0x1                            ; 16-byte Folded Reload
	scratch_load_b64 v[19:20], off, off offset:2472
	scratch_load_b64 v[110:111], off, off offset:2488
	.loc	1 210 22                        ; attention_bwd.py:210:22
	global_store_b16 v[5:6], v18, off
	.loc	1 209 50                        ; attention_bwd.py:209:50
	v_add_co_u32 v5, vcc_lo, v0, v37
	s_delay_alu instid0(VALU_DEP_1) | instskip(SKIP_2) | instid1(VALU_DEP_1)
	v_add_co_ci_u32_e64 v6, null, v7, v38, vcc_lo
	.loc	1 210 22                        ; attention_bwd.py:210:22
	global_store_b16 v[5:6], v17, off
	.loc	1 209 50                        ; attention_bwd.py:209:50
	v_add_co_u32 v5, vcc_lo, v0, v106
	v_add_co_ci_u32_e64 v6, null, v7, v107, vcc_lo
	scratch_load_b64 v[17:18], off, off offset:2464 ; 8-byte Folded Reload
	.loc	1 210 22                        ; attention_bwd.py:210:22
	global_store_b16 v[5:6], v14, off
	.loc	1 209 50                        ; attention_bwd.py:209:50
	v_add_co_u32 v5, vcc_lo, v0, v39
	s_delay_alu instid0(VALU_DEP_1) | instskip(SKIP_2) | instid1(VALU_DEP_1)
	v_add_co_ci_u32_e64 v6, null, v7, v40, vcc_lo
	.loc	1 210 22                        ; attention_bwd.py:210:22
	global_store_b16 v[5:6], v13, off
	.loc	1 209 50                        ; attention_bwd.py:209:50
	v_add_co_u32 v5, vcc_lo, v0, v104
	v_add_co_ci_u32_e64 v6, null, v7, v105, vcc_lo
	s_clause 0x1                            ; 16-byte Folded Reload
	scratch_load_b64 v[13:14], off, off offset:2456
	scratch_load_b64 v[105:106], off, off offset:2480
	.loc	1 210 22                        ; attention_bwd.py:210:22
	global_store_b16 v[5:6], v12, off
	.loc	1 209 50                        ; attention_bwd.py:209:50
	v_add_co_u32 v5, vcc_lo, v0, v41
	s_delay_alu instid0(VALU_DEP_1) | instskip(SKIP_2) | instid1(VALU_DEP_1)
	v_add_co_ci_u32_e64 v6, null, v7, v42, vcc_lo
	.loc	1 210 22                        ; attention_bwd.py:210:22
	global_store_b16 v[5:6], v11, off
	.loc	1 209 50                        ; attention_bwd.py:209:50
	v_add_co_u32 v5, vcc_lo, v0, v102
	v_add_co_ci_u32_e64 v6, null, v7, v103, vcc_lo
	scratch_load_b64 v[11:12], off, off offset:1804 ; 8-byte Folded Reload
	.loc	1 210 22                        ; attention_bwd.py:210:22
	global_store_b16 v[5:6], v10, off
	.loc	1 209 50                        ; attention_bwd.py:209:50
	v_add_co_u32 v5, vcc_lo, v0, v43
	s_delay_alu instid0(VALU_DEP_1) | instskip(SKIP_2) | instid1(VALU_DEP_1)
	v_add_co_ci_u32_e64 v6, null, v7, v44, vcc_lo
	.loc	1 210 22                        ; attention_bwd.py:210:22
	global_store_b16 v[5:6], v9, off
	.loc	1 209 50                        ; attention_bwd.py:209:50
	v_add_co_u32 v5, vcc_lo, v0, v100
	v_add_co_ci_u32_e64 v6, null, v7, v101, vcc_lo
	scratch_load_b64 v[9:10], off, off offset:1796 ; 8-byte Folded Reload
	;; [unrolled: 12-line block ×3, first 2 shown]
	.loc	1 210 22                        ; attention_bwd.py:210:22
	global_store_b16 v[3:4], v2, off
	.loc	1 209 50                        ; attention_bwd.py:209:50
	v_add_co_u32 v2, vcc_lo, v0, v97
	s_delay_alu instid0(VALU_DEP_1)
	v_add_co_ci_u32_e64 v3, null, v7, v98, vcc_lo
	s_clause 0x1                            ; 16-byte Folded Reload
	scratch_load_b64 v[4:5], off, off offset:1828
	scratch_load_b64 v[6:7], off, off offset:1820
	.loc	1 210 22                        ; attention_bwd.py:210:22
	global_store_b16 v[2:3], v1, off
	scratch_load_b64 v[2:3], off, off offset:1872 ; 8-byte Folded Reload
	.loc	1 220 20                        ; attention_bwd.py:220:20
	s_waitcnt vmcnt(0)
	v_add_co_u32 v0, vcc_lo, s74, v2
	s_delay_alu instid0(VALU_DEP_1) | instskip(NEXT) | instid1(VALU_DEP_2)
	v_add_co_ci_u32_e64 v1, null, s75, v3, vcc_lo
	.loc	1 220 51 is_stmt 0              ; attention_bwd.py:220:51
	v_add_co_u32 v0, vcc_lo, v0, v251
	s_delay_alu instid0(VALU_DEP_1) | instskip(SKIP_4) | instid1(VALU_DEP_1)
	v_add_co_ci_u32_e64 v1, null, v1, v252, vcc_lo
	scratch_store_b64 off, v[15:16], off offset:2540 ; 8-byte Folded Spill
	scratch_load_b64 v[15:16], off, off offset:2448 ; 8-byte Folded Reload
	scratch_store_b64 off, v[0:1], off offset:160 ; 8-byte Folded Spill
	.loc	1 220 20                        ; attention_bwd.py:220:20
	v_add_co_u32 v0, vcc_lo, s74, v136
	v_add_co_ci_u32_e64 v1, null, s75, v137, vcc_lo
	s_delay_alu instid0(VALU_DEP_2) | instskip(NEXT) | instid1(VALU_DEP_1)
	.loc	1 220 51                        ; attention_bwd.py:220:51
	v_add_co_u32 v0, vcc_lo, v0, v251
	v_add_co_ci_u32_e64 v1, null, v1, v252, vcc_lo
	s_clause 0x1                            ; 16-byte Folded Spill
	scratch_store_b64 off, v[123:124], off offset:2516
	scratch_store_b64 off, v[0:1], off offset:64
	.loc	1 220 20                        ; attention_bwd.py:220:20
	v_add_co_u32 v0, vcc_lo, s74, v4
	s_delay_alu instid0(VALU_DEP_1) | instskip(NEXT) | instid1(VALU_DEP_2)
	v_add_co_ci_u32_e64 v1, null, s75, v5, vcc_lo
	.loc	1 220 51                        ; attention_bwd.py:220:51
	v_add_co_u32 v0, vcc_lo, v0, v251
	s_delay_alu instid0(VALU_DEP_1) | instskip(SKIP_4) | instid1(VALU_DEP_1)
	v_add_co_ci_u32_e64 v1, null, v1, v252, vcc_lo
	scratch_store_b64 off, v[166:167], off offset:2508 ; 8-byte Folded Spill
	scratch_load_b64 v[166:167], off, off offset:1944 ; 8-byte Folded Reload
	scratch_store_b64 off, v[0:1], off offset:32 ; 8-byte Folded Spill
	.loc	1 220 20                        ; attention_bwd.py:220:20
	v_add_co_u32 v0, vcc_lo, s74, v6
	v_add_co_ci_u32_e64 v1, null, s75, v7, vcc_lo
	s_delay_alu instid0(VALU_DEP_2) | instskip(NEXT) | instid1(VALU_DEP_1)
	.loc	1 220 51                        ; attention_bwd.py:220:51
	v_add_co_u32 v0, vcc_lo, v0, v251
	v_add_co_ci_u32_e64 v1, null, v1, v252, vcc_lo
	scratch_store_b64 off, v[164:165], off offset:1860 ; 8-byte Folded Spill
	scratch_load_b64 v[164:165], off, off offset:1936 ; 8-byte Folded Reload
	scratch_store_b64 off, v[0:1], off      ; 8-byte Folded Spill
	.loc	1 220 20                        ; attention_bwd.py:220:20
	v_add_co_u32 v0, vcc_lo, s74, v138
	s_delay_alu instid0(VALU_DEP_1) | instskip(NEXT) | instid1(VALU_DEP_2)
	v_add_co_ci_u32_e64 v1, null, s75, v139, vcc_lo
	.loc	1 220 51                        ; attention_bwd.py:220:51
	v_add_co_u32 v21, vcc_lo, v0, v251
	s_delay_alu instid0(VALU_DEP_1) | instskip(SKIP_1) | instid1(VALU_DEP_1)
	v_add_co_ci_u32_e64 v22, null, v1, v252, vcc_lo
	.loc	1 220 20                        ; attention_bwd.py:220:20
	v_add_co_u32 v0, vcc_lo, s74, v11
	v_add_co_ci_u32_e64 v1, null, s75, v12, vcc_lo
	s_delay_alu instid0(VALU_DEP_2) | instskip(NEXT) | instid1(VALU_DEP_1)
	.loc	1 220 51                        ; attention_bwd.py:220:51
	v_add_co_u32 v0, vcc_lo, v0, v251
	v_add_co_ci_u32_e64 v1, null, v1, v252, vcc_lo
	s_clause 0x1                            ; 16-byte Folded Spill
	scratch_store_b64 off, v[120:121], off offset:2580
	scratch_store_b64 off, v[174:175], off offset:2756
	scratch_load_b64 v[174:175], off, off offset:2112 ; 8-byte Folded Reload
	scratch_store_b64 off, v[0:1], off offset:248 ; 8-byte Folded Spill
	.loc	1 220 20                        ; attention_bwd.py:220:20
	v_add_co_u32 v0, vcc_lo, s74, v9
	s_delay_alu instid0(VALU_DEP_1) | instskip(NEXT) | instid1(VALU_DEP_2)
	v_add_co_ci_u32_e64 v1, null, s75, v10, vcc_lo
	.loc	1 220 51                        ; attention_bwd.py:220:51
	v_add_co_u32 v0, vcc_lo, v0, v251
	s_delay_alu instid0(VALU_DEP_1) | instskip(SKIP_4) | instid1(VALU_DEP_1)
	v_add_co_ci_u32_e64 v1, null, v1, v252, vcc_lo
	s_clause 0x1                            ; 16-byte Folded Spill
	scratch_store_b64 off, v[23:24], off offset:2556
	scratch_store_b64 off, v[0:1], off offset:224
	.loc	1 220 20                        ; attention_bwd.py:220:20
	v_add_co_u32 v0, vcc_lo, s74, v140
	v_add_co_ci_u32_e64 v1, null, s75, v141, vcc_lo
	s_delay_alu instid0(VALU_DEP_2) | instskip(NEXT) | instid1(VALU_DEP_1)
	.loc	1 220 51                        ; attention_bwd.py:220:51
	v_add_co_u32 v0, vcc_lo, v0, v251
	v_add_co_ci_u32_e64 v1, null, v1, v252, vcc_lo
	scratch_store_b64 off, v[168:169], off offset:2524 ; 8-byte Folded Spill
	scratch_load_b64 v[168:169], off, off offset:2032 ; 8-byte Folded Reload
	scratch_store_b64 off, v[0:1], off offset:96 ; 8-byte Folded Spill
	.loc	1 220 20                        ; attention_bwd.py:220:20
	v_add_co_u32 v0, vcc_lo, s74, v142
	s_delay_alu instid0(VALU_DEP_1) | instskip(NEXT) | instid1(VALU_DEP_2)
	v_add_co_ci_u32_e64 v1, null, s75, v143, vcc_lo
	.loc	1 220 51                        ; attention_bwd.py:220:51
	v_add_co_u32 v0, vcc_lo, v0, v251
	s_delay_alu instid0(VALU_DEP_1) | instskip(SKIP_4) | instid1(VALU_DEP_1)
	v_add_co_ci_u32_e64 v1, null, v1, v252, vcc_lo
	s_clause 0x1                            ; 16-byte Folded Spill
	scratch_store_b64 off, v[125:126], off offset:2532
	scratch_store_b64 off, v[0:1], off offset:128
	.loc	1 220 20                        ; attention_bwd.py:220:20
	v_add_co_u32 v0, vcc_lo, s74, v144
	v_add_co_ci_u32_e64 v1, null, s75, v145, vcc_lo
	s_delay_alu instid0(VALU_DEP_2) | instskip(NEXT) | instid1(VALU_DEP_1)
	.loc	1 220 51                        ; attention_bwd.py:220:51
	v_add_co_u32 v0, vcc_lo, v0, v251
	v_add_co_ci_u32_e64 v1, null, v1, v252, vcc_lo
	s_clause 0x1                            ; 16-byte Folded Spill
	scratch_store_b64 off, v[127:128], off offset:2548
	scratch_store_b64 off, v[0:1], off offset:192
	.loc	1 220 20                        ; attention_bwd.py:220:20
	v_add_co_u32 v0, vcc_lo, s74, v150
	s_delay_alu instid0(VALU_DEP_1) | instskip(NEXT) | instid1(VALU_DEP_2)
	v_add_co_ci_u32_e64 v1, null, s75, v151, vcc_lo
	.loc	1 220 51                        ; attention_bwd.py:220:51
	v_add_co_u32 v0, vcc_lo, v0, v251
	s_delay_alu instid0(VALU_DEP_1) | instskip(SKIP_4) | instid1(VALU_DEP_1)
	v_add_co_ci_u32_e64 v1, null, v1, v252, vcc_lo
	scratch_store_b64 off, v[170:171], off offset:2564 ; 8-byte Folded Spill
	scratch_load_b64 v[170:171], off, off offset:2096 ; 8-byte Folded Reload
	scratch_store_b64 off, v[0:1], off offset:232 ; 8-byte Folded Spill
	.loc	1 220 20                        ; attention_bwd.py:220:20
	v_add_co_u32 v0, vcc_lo, s74, v152
	v_add_co_ci_u32_e64 v1, null, s75, v153, vcc_lo
	s_delay_alu instid0(VALU_DEP_2) | instskip(NEXT) | instid1(VALU_DEP_1)
	.loc	1 220 51                        ; attention_bwd.py:220:51
	v_add_co_u32 v0, vcc_lo, v0, v251
	v_add_co_ci_u32_e64 v1, null, v1, v252, vcc_lo
	s_clause 0x1                            ; 16-byte Folded Spill
	scratch_store_b64 off, v[25:26], off offset:2572
	scratch_store_b64 off, v[0:1], off offset:240
	.loc	1 220 20                        ; attention_bwd.py:220:20
	v_add_co_u32 v0, vcc_lo, s74, v148
	s_delay_alu instid0(VALU_DEP_1) | instskip(NEXT) | instid1(VALU_DEP_2)
	v_add_co_ci_u32_e64 v1, null, s75, v149, vcc_lo
	.loc	1 220 51                        ; attention_bwd.py:220:51
	v_add_co_u32 v23, vcc_lo, v0, v251
	s_delay_alu instid0(VALU_DEP_1) | instskip(SKIP_1) | instid1(VALU_DEP_1)
	v_add_co_ci_u32_e64 v24, null, v1, v252, vcc_lo
	.loc	1 220 20                        ; attention_bwd.py:220:20
	v_add_co_u32 v0, vcc_lo, s74, v156
	v_add_co_ci_u32_e64 v1, null, s75, v157, vcc_lo
	s_delay_alu instid0(VALU_DEP_2) | instskip(NEXT) | instid1(VALU_DEP_1)
	.loc	1 220 51                        ; attention_bwd.py:220:51
	v_add_co_u32 v27, vcc_lo, v0, v251
	v_add_co_ci_u32_e64 v28, null, v1, v252, vcc_lo
	.loc	1 220 20                        ; attention_bwd.py:220:20
	v_add_co_u32 v0, vcc_lo, s74, v158
	s_delay_alu instid0(VALU_DEP_1) | instskip(NEXT) | instid1(VALU_DEP_2)
	v_add_co_ci_u32_e64 v1, null, s75, v159, vcc_lo
	.loc	1 220 51                        ; attention_bwd.py:220:51
	v_add_co_u32 v29, vcc_lo, v0, v251
	s_delay_alu instid0(VALU_DEP_1) | instskip(SKIP_1) | instid1(VALU_DEP_1)
	v_add_co_ci_u32_e64 v30, null, v1, v252, vcc_lo
	.loc	1 220 20                        ; attention_bwd.py:220:20
	v_add_co_u32 v0, vcc_lo, s74, v162
	v_add_co_ci_u32_e64 v1, null, s75, v163, vcc_lo
	s_delay_alu instid0(VALU_DEP_2) | instskip(NEXT) | instid1(VALU_DEP_1)
	.loc	1 220 51                        ; attention_bwd.py:220:51
	v_add_co_u32 v31, vcc_lo, v0, v251
	v_add_co_ci_u32_e64 v32, null, v1, v252, vcc_lo
	.loc	1 220 20                        ; attention_bwd.py:220:20
	s_waitcnt vmcnt(3)
	v_add_co_u32 v0, vcc_lo, s74, v164
	s_delay_alu instid0(VALU_DEP_1) | instskip(NEXT) | instid1(VALU_DEP_2)
	v_add_co_ci_u32_e64 v1, null, s75, v165, vcc_lo
	.loc	1 220 51                        ; attention_bwd.py:220:51
	v_add_co_u32 v33, vcc_lo, v0, v251
	s_delay_alu instid0(VALU_DEP_1) | instskip(SKIP_1) | instid1(VALU_DEP_1)
	v_add_co_ci_u32_e64 v34, null, v1, v252, vcc_lo
	.loc	1 220 20                        ; attention_bwd.py:220:20
	v_add_co_u32 v0, vcc_lo, s74, v166
	v_add_co_ci_u32_e64 v1, null, s75, v167, vcc_lo
	s_delay_alu instid0(VALU_DEP_2) | instskip(NEXT) | instid1(VALU_DEP_1)
	.loc	1 220 51                        ; attention_bwd.py:220:51
	v_add_co_u32 v35, vcc_lo, v0, v251
	v_add_co_ci_u32_e64 v36, null, v1, v252, vcc_lo
	.loc	1 220 20                        ; attention_bwd.py:220:20
	s_waitcnt vmcnt(1)
	v_add_co_u32 v0, vcc_lo, s74, v168
	s_delay_alu instid0(VALU_DEP_1) | instskip(NEXT) | instid1(VALU_DEP_2)
	v_add_co_ci_u32_e64 v1, null, s75, v169, vcc_lo
	.loc	1 220 51                        ; attention_bwd.py:220:51
	v_add_co_u32 v37, vcc_lo, v0, v251
	s_delay_alu instid0(VALU_DEP_1) | instskip(SKIP_2) | instid1(VALU_DEP_1)
	v_add_co_ci_u32_e64 v38, null, v1, v252, vcc_lo
	.loc	1 220 20                        ; attention_bwd.py:220:20
	s_waitcnt vmcnt(0)
	v_add_co_u32 v0, vcc_lo, s74, v170
	v_add_co_ci_u32_e64 v1, null, s75, v171, vcc_lo
	s_delay_alu instid0(VALU_DEP_2) | instskip(NEXT) | instid1(VALU_DEP_1)
	.loc	1 220 51                        ; attention_bwd.py:220:51
	v_add_co_u32 v39, vcc_lo, v0, v251
	v_add_co_ci_u32_e64 v40, null, v1, v252, vcc_lo
	.loc	1 220 20                        ; attention_bwd.py:220:20
	v_add_co_u32 v0, vcc_lo, s74, v172
	s_delay_alu instid0(VALU_DEP_1) | instskip(NEXT) | instid1(VALU_DEP_2)
	v_add_co_ci_u32_e64 v1, null, s75, v173, vcc_lo
	.loc	1 220 51                        ; attention_bwd.py:220:51
	v_add_co_u32 v25, vcc_lo, v0, v251
	s_delay_alu instid0(VALU_DEP_1) | instskip(SKIP_1) | instid1(VALU_DEP_1)
	v_add_co_ci_u32_e64 v26, null, v1, v252, vcc_lo
	.loc	1 220 20                        ; attention_bwd.py:220:20
	v_add_co_u32 v0, vcc_lo, s74, v174
	v_add_co_ci_u32_e64 v1, null, s75, v175, vcc_lo
	s_delay_alu instid0(VALU_DEP_2) | instskip(NEXT) | instid1(VALU_DEP_1)
	.loc	1 220 51                        ; attention_bwd.py:220:51
	v_add_co_u32 v43, vcc_lo, v0, v251
	v_add_co_ci_u32_e64 v44, null, v1, v252, vcc_lo
	.loc	1 220 20                        ; attention_bwd.py:220:20
	v_add_co_u32 v0, vcc_lo, s74, v176
	s_delay_alu instid0(VALU_DEP_1) | instskip(NEXT) | instid1(VALU_DEP_2)
	v_add_co_ci_u32_e64 v1, null, s75, v177, vcc_lo
	.loc	1 220 51                        ; attention_bwd.py:220:51
	v_add_co_u32 v45, vcc_lo, v0, v251
	s_delay_alu instid0(VALU_DEP_1) | instskip(SKIP_1) | instid1(VALU_DEP_1)
	v_add_co_ci_u32_e64 v46, null, v1, v252, vcc_lo
	.loc	1 220 20                        ; attention_bwd.py:220:20
	;; [unrolled: 15-line block ×22, first 2 shown]
	v_add_co_u32 v0, vcc_lo, s74, v146
	v_add_co_ci_u32_e64 v1, null, s75, v147, vcc_lo
	s_delay_alu instid0(VALU_DEP_2) | instskip(NEXT) | instid1(VALU_DEP_1)
	.loc	1 220 51                        ; attention_bwd.py:220:51
	v_add_co_u32 v134, vcc_lo, v0, v251
	v_add_co_ci_u32_e64 v135, null, v1, v252, vcc_lo
	.loc	1 222 22 is_stmt 1              ; attention_bwd.py:222:22
	v_add_co_u32 v0, vcc_lo, s78, v2
	s_delay_alu instid0(VALU_DEP_1) | instskip(SKIP_1) | instid1(VALU_DEP_1)
	v_add_co_ci_u32_e64 v1, null, s79, v3, vcc_lo
	v_add_co_u32 v2, vcc_lo, s78, v136
	v_add_co_ci_u32_e64 v3, null, s79, v137, vcc_lo
	v_add_co_u32 v4, vcc_lo, s78, v4
	s_delay_alu instid0(VALU_DEP_1) | instskip(SKIP_1) | instid1(VALU_DEP_1)
	v_add_co_ci_u32_e64 v5, null, s79, v5, vcc_lo
	v_add_co_u32 v6, vcc_lo, s78, v6
	v_add_co_ci_u32_e64 v7, null, s79, v7, vcc_lo
	v_add_co_u32 v8, vcc_lo, s78, v138
	s_delay_alu instid0(VALU_DEP_1) | instskip(SKIP_1) | instid1(VALU_DEP_1)
	v_add_co_ci_u32_e64 v107, null, s79, v139, vcc_lo
	v_add_co_u32 v136, vcc_lo, s78, v11
	v_add_co_ci_u32_e64 v137, null, s79, v12, vcc_lo
	v_add_co_u32 v138, vcc_lo, s78, v9
	s_delay_alu instid0(VALU_DEP_1) | instskip(SKIP_1) | instid1(VALU_DEP_1)
	v_add_co_ci_u32_e64 v139, null, s79, v10, vcc_lo
	v_add_co_u32 v140, vcc_lo, s78, v140
	v_add_co_ci_u32_e64 v141, null, s79, v141, vcc_lo
	v_add_co_u32 v142, vcc_lo, s78, v142
	s_delay_alu instid0(VALU_DEP_1) | instskip(SKIP_1) | instid1(VALU_DEP_1)
	v_add_co_ci_u32_e64 v143, null, s79, v143, vcc_lo
	v_add_co_u32 v144, vcc_lo, s78, v144
	v_add_co_ci_u32_e64 v145, null, s79, v145, vcc_lo
	v_add_co_u32 v150, vcc_lo, s78, v150
	s_delay_alu instid0(VALU_DEP_1) | instskip(SKIP_1) | instid1(VALU_DEP_1)
	v_add_co_ci_u32_e64 v151, null, s79, v151, vcc_lo
	v_add_co_u32 v152, vcc_lo, s78, v152
	v_add_co_ci_u32_e64 v153, null, s79, v153, vcc_lo
	v_add_co_u32 v154, vcc_lo, s78, v148
	s_delay_alu instid0(VALU_DEP_1) | instskip(SKIP_1) | instid1(VALU_DEP_1)
	v_add_co_ci_u32_e64 v155, null, s79, v149, vcc_lo
	v_add_co_u32 v156, vcc_lo, s78, v156
	v_add_co_ci_u32_e64 v157, null, s79, v157, vcc_lo
	v_add_co_u32 v160, vcc_lo, s78, v158
	s_delay_alu instid0(VALU_DEP_1) | instskip(SKIP_1) | instid1(VALU_DEP_1)
	v_add_co_ci_u32_e64 v161, null, s79, v159, vcc_lo
	v_add_co_u32 v162, vcc_lo, s78, v162
	v_add_co_ci_u32_e64 v163, null, s79, v163, vcc_lo
	v_add_co_u32 v164, vcc_lo, s78, v164
	s_delay_alu instid0(VALU_DEP_1) | instskip(SKIP_1) | instid1(VALU_DEP_1)
	v_add_co_ci_u32_e64 v165, null, s79, v165, vcc_lo
	v_add_co_u32 v166, vcc_lo, s78, v166
	v_add_co_ci_u32_e64 v167, null, s79, v167, vcc_lo
	v_add_co_u32 v168, vcc_lo, s78, v168
	s_delay_alu instid0(VALU_DEP_1) | instskip(SKIP_1) | instid1(VALU_DEP_1)
	v_add_co_ci_u32_e64 v169, null, s79, v169, vcc_lo
	v_add_co_u32 v170, vcc_lo, s78, v170
	v_add_co_ci_u32_e64 v171, null, s79, v171, vcc_lo
	v_add_co_u32 v172, vcc_lo, s78, v172
	s_delay_alu instid0(VALU_DEP_1) | instskip(SKIP_1) | instid1(VALU_DEP_1)
	v_add_co_ci_u32_e64 v173, null, s79, v173, vcc_lo
	v_add_co_u32 v174, vcc_lo, s78, v174
	v_add_co_ci_u32_e64 v175, null, s79, v175, vcc_lo
	v_add_co_u32 v176, vcc_lo, s78, v176
	s_delay_alu instid0(VALU_DEP_1) | instskip(SKIP_1) | instid1(VALU_DEP_1)
	v_add_co_ci_u32_e64 v177, null, s79, v177, vcc_lo
	v_add_co_u32 v178, vcc_lo, s78, v178
	v_add_co_ci_u32_e64 v179, null, s79, v179, vcc_lo
	v_add_co_u32 v180, vcc_lo, s78, v180
	s_delay_alu instid0(VALU_DEP_1) | instskip(SKIP_1) | instid1(VALU_DEP_1)
	v_add_co_ci_u32_e64 v181, null, s79, v181, vcc_lo
	v_add_co_u32 v182, vcc_lo, s78, v182
	v_add_co_ci_u32_e64 v183, null, s79, v183, vcc_lo
	v_add_co_u32 v184, vcc_lo, s78, v184
	s_delay_alu instid0(VALU_DEP_1) | instskip(SKIP_1) | instid1(VALU_DEP_1)
	v_add_co_ci_u32_e64 v185, null, s79, v185, vcc_lo
	v_add_co_u32 v186, vcc_lo, s78, v186
	v_add_co_ci_u32_e64 v187, null, s79, v187, vcc_lo
	v_add_co_u32 v188, vcc_lo, s78, v188
	s_delay_alu instid0(VALU_DEP_1) | instskip(SKIP_1) | instid1(VALU_DEP_1)
	v_add_co_ci_u32_e64 v189, null, s79, v189, vcc_lo
	v_add_co_u32 v190, vcc_lo, s78, v190
	v_add_co_ci_u32_e64 v191, null, s79, v191, vcc_lo
	v_add_co_u32 v192, vcc_lo, s78, v192
	s_delay_alu instid0(VALU_DEP_1) | instskip(SKIP_1) | instid1(VALU_DEP_1)
	v_add_co_ci_u32_e64 v193, null, s79, v193, vcc_lo
	v_add_co_u32 v194, vcc_lo, s78, v194
	v_add_co_ci_u32_e64 v195, null, s79, v195, vcc_lo
	v_add_co_u32 v198, vcc_lo, s78, v196
	s_delay_alu instid0(VALU_DEP_1) | instskip(SKIP_1) | instid1(VALU_DEP_1)
	v_add_co_ci_u32_e64 v199, null, s79, v197, vcc_lo
	v_add_co_u32 v200, vcc_lo, s78, v200
	v_add_co_ci_u32_e64 v201, null, s79, v201, vcc_lo
	v_add_co_u32 v204, vcc_lo, s78, v202
	s_delay_alu instid0(VALU_DEP_1) | instskip(SKIP_1) | instid1(VALU_DEP_1)
	v_add_co_ci_u32_e64 v205, null, s79, v203, vcc_lo
	v_add_co_u32 v206, vcc_lo, s78, v206
	v_add_co_ci_u32_e64 v207, null, s79, v207, vcc_lo
	v_add_co_u32 v208, vcc_lo, s78, v208
	s_delay_alu instid0(VALU_DEP_1) | instskip(SKIP_1) | instid1(VALU_DEP_1)
	v_add_co_ci_u32_e64 v209, null, s79, v209, vcc_lo
	v_add_co_u32 v210, vcc_lo, s78, v210
	v_add_co_ci_u32_e64 v211, null, s79, v211, vcc_lo
	v_add_co_u32 v212, vcc_lo, s78, v212
	s_delay_alu instid0(VALU_DEP_1) | instskip(SKIP_1) | instid1(VALU_DEP_1)
	v_add_co_ci_u32_e64 v213, null, s79, v213, vcc_lo
	v_add_co_u32 v214, vcc_lo, s78, v214
	v_add_co_ci_u32_e64 v215, null, s79, v215, vcc_lo
	v_add_co_u32 v216, vcc_lo, s78, v216
	s_delay_alu instid0(VALU_DEP_1) | instskip(SKIP_1) | instid1(VALU_DEP_1)
	v_add_co_ci_u32_e64 v217, null, s79, v217, vcc_lo
	v_add_co_u32 v218, vcc_lo, s78, v218
	v_add_co_ci_u32_e64 v219, null, s79, v219, vcc_lo
	v_add_co_u32 v220, vcc_lo, s78, v220
	s_delay_alu instid0(VALU_DEP_1) | instskip(SKIP_1) | instid1(VALU_DEP_1)
	v_add_co_ci_u32_e64 v221, null, s79, v221, vcc_lo
	v_add_co_u32 v222, vcc_lo, s78, v222
	v_add_co_ci_u32_e64 v223, null, s79, v223, vcc_lo
	v_add_co_u32 v224, vcc_lo, s78, v224
	s_delay_alu instid0(VALU_DEP_1) | instskip(SKIP_1) | instid1(VALU_DEP_1)
	v_add_co_ci_u32_e64 v225, null, s79, v225, vcc_lo
	v_add_co_u32 v226, vcc_lo, s78, v226
	v_add_co_ci_u32_e64 v227, null, s79, v227, vcc_lo
	v_add_co_u32 v228, vcc_lo, s78, v228
	s_delay_alu instid0(VALU_DEP_1) | instskip(SKIP_1) | instid1(VALU_DEP_1)
	v_add_co_ci_u32_e64 v229, null, s79, v229, vcc_lo
	v_add_co_u32 v230, vcc_lo, s78, v230
	v_add_co_ci_u32_e64 v231, null, s79, v231, vcc_lo
	v_add_co_u32 v232, vcc_lo, s78, v232
	s_delay_alu instid0(VALU_DEP_1) | instskip(SKIP_1) | instid1(VALU_DEP_1)
	v_add_co_ci_u32_e64 v233, null, s79, v233, vcc_lo
	v_add_co_u32 v234, vcc_lo, s78, v234
	v_add_co_ci_u32_e64 v235, null, s79, v235, vcc_lo
	v_add_co_u32 v236, vcc_lo, s78, v236
	s_delay_alu instid0(VALU_DEP_1) | instskip(SKIP_1) | instid1(VALU_DEP_1)
	v_add_co_ci_u32_e64 v237, null, s79, v237, vcc_lo
	v_add_co_u32 v238, vcc_lo, s78, v238
	v_add_co_ci_u32_e64 v239, null, s79, v239, vcc_lo
	v_add_co_u32 v240, vcc_lo, s78, v240
	s_delay_alu instid0(VALU_DEP_1) | instskip(SKIP_1) | instid1(VALU_DEP_1)
	v_add_co_ci_u32_e64 v241, null, s79, v241, vcc_lo
	v_add_co_u32 v242, vcc_lo, s78, v242
	v_add_co_ci_u32_e64 v243, null, s79, v243, vcc_lo
	v_add_co_u32 v244, vcc_lo, s78, v244
	s_delay_alu instid0(VALU_DEP_1) | instskip(SKIP_1) | instid1(VALU_DEP_1)
	v_add_co_ci_u32_e64 v245, null, s79, v245, vcc_lo
	v_add_co_u32 v246, vcc_lo, s78, v246
	v_add_co_ci_u32_e64 v247, null, s79, v247, vcc_lo
	v_add_co_u32 v248, vcc_lo, s78, v108
	s_delay_alu instid0(VALU_DEP_1) | instskip(SKIP_1) | instid1(VALU_DEP_1)
	v_add_co_ci_u32_e64 v73, null, s79, v109, vcc_lo
	v_add_co_u32 v74, vcc_lo, s78, v15
	v_add_co_ci_u32_e64 v253, null, s79, v16, vcc_lo
	v_add_co_u32 v9, vcc_lo, s78, v13
	s_delay_alu instid0(VALU_DEP_1) | instskip(SKIP_1) | instid1(VALU_DEP_1)
	v_add_co_ci_u32_e64 v10, null, s79, v14, vcc_lo
	v_add_co_u32 v11, vcc_lo, s78, v17
	v_add_co_ci_u32_e64 v12, null, s79, v18, vcc_lo
	v_add_co_u32 v13, vcc_lo, s78, v19
	s_delay_alu instid0(VALU_DEP_1) | instskip(SKIP_1) | instid1(VALU_DEP_1)
	v_add_co_ci_u32_e64 v14, null, s79, v20, vcc_lo
	v_add_co_u32 v15, vcc_lo, s78, v105
	v_add_co_ci_u32_e64 v16, null, s79, v106, vcc_lo
	v_add_co_u32 v17, vcc_lo, s78, v110
	s_delay_alu instid0(VALU_DEP_1) | instskip(SKIP_1) | instid1(VALU_DEP_1)
	v_add_co_ci_u32_e64 v18, null, s79, v111, vcc_lo
	v_add_co_u32 v19, vcc_lo, s78, v146
	v_add_co_ci_u32_e64 v20, null, s79, v147, vcc_lo
	.loc	1 222 53 is_stmt 0              ; attention_bwd.py:222:53
	v_add_co_u32 v196, vcc_lo, v0, v251
	s_delay_alu instid0(VALU_DEP_1) | instskip(SKIP_1) | instid1(VALU_DEP_1)
	v_add_co_ci_u32_e64 v197, null, v1, v252, vcc_lo
	v_add_co_u32 v146, vcc_lo, v2, v251
	v_add_co_ci_u32_e64 v147, null, v3, v252, vcc_lo
	v_add_co_u32 v110, vcc_lo, v4, v251
	s_delay_alu instid0(VALU_DEP_1) | instskip(SKIP_1) | instid1(VALU_DEP_1)
	v_add_co_ci_u32_e64 v111, null, v5, v252, vcc_lo
	v_add_co_u32 v105, vcc_lo, v6, v251
	v_add_co_ci_u32_e64 v106, null, v7, v252, vcc_lo
	;; [unrolled: 5-line block ×29, first 2 shown]
	v_add_co_u32 v73, vcc_lo, v9, v251
	.loc	1 220 16 is_stmt 1              ; attention_bwd.py:220:16
	scratch_load_b64 v[8:9], off, off offset:160 ; 8-byte Folded Reload
	.loc	1 222 53                        ; attention_bwd.py:222:53
	v_add_co_ci_u32_e64 v74, null, v10, v252, vcc_lo
	v_add_co_u32 v6, vcc_lo, v11, v251
	.loc	1 220 16                        ; attention_bwd.py:220:16
	s_waitcnt vmcnt(0)
	s_clause 0x1
	global_load_u16 v8, v[8:9], off
	global_load_u16 v9, v[21:22], off
	scratch_load_b64 v[10:11], off, off offset:64 ; 8-byte Folded Reload
	.loc	1 222 53                        ; attention_bwd.py:222:53
	v_add_co_ci_u32_e64 v7, null, v12, v252, vcc_lo
	.loc	1 220 16                        ; attention_bwd.py:220:16
	s_waitcnt vmcnt(0)
	global_load_u16 v10, v[10:11], off
	scratch_load_b64 v[11:12], off, off offset:248 ; 8-byte Folded Reload
	.loc	1 222 53                        ; attention_bwd.py:222:53
	v_add_co_u32 v4, vcc_lo, v13, v251
	.loc	1 220 16                        ; attention_bwd.py:220:16
	s_waitcnt vmcnt(0)
	global_load_u16 v11, v[11:12], off
	scratch_load_b64 v[12:13], off, off offset:32 ; 8-byte Folded Reload
	.loc	1 222 53                        ; attention_bwd.py:222:53
	v_add_co_ci_u32_e64 v5, null, v14, v252, vcc_lo
	.loc	1 220 16                        ; attention_bwd.py:220:16
	s_waitcnt vmcnt(0)
	global_load_u16 v12, v[12:13], off
	scratch_load_b64 v[13:14], off, off offset:224 ; 8-byte Folded Reload
	.loc	1 222 53                        ; attention_bwd.py:222:53
	v_add_co_u32 v2, vcc_lo, v15, v251
	.loc	1 220 16                        ; attention_bwd.py:220:16
	s_waitcnt vmcnt(0)
	global_load_u16 v13, v[13:14], off
	scratch_load_b64 v[14:15], off, off offset:96 ; 8-byte Folded Reload
	.loc	1 222 53                        ; attention_bwd.py:222:53
	v_add_co_ci_u32_e64 v3, null, v16, v252, vcc_lo
	.loc	1 220 16                        ; attention_bwd.py:220:16
	s_waitcnt vmcnt(0)
	global_load_u16 v14, v[14:15], off
	scratch_load_b64 v[15:16], off, off     ; 8-byte Folded Reload
	.loc	1 222 53                        ; attention_bwd.py:222:53
	v_add_co_u32 v0, vcc_lo, v17, v251
	.loc	1 220 16                        ; attention_bwd.py:220:16
	s_waitcnt vmcnt(0)
	global_load_u16 v15, v[15:16], off
	scratch_load_b64 v[16:17], off, off offset:128 ; 8-byte Folded Reload
	.loc	1 222 53                        ; attention_bwd.py:222:53
	v_add_co_ci_u32_e64 v1, null, v18, v252, vcc_lo
	v_add_co_u32 v107, vcc_lo, v19, v251
	.loc	1 220 16                        ; attention_bwd.py:220:16
	s_waitcnt vmcnt(0)
	s_clause 0x1
	global_load_u16 v16, v[16:17], off
	global_load_u16 v17, v[23:24], off
	scratch_load_b64 v[18:19], off, off offset:192 ; 8-byte Folded Reload
	.loc	1 222 53                        ; attention_bwd.py:222:53
	v_add_co_ci_u32_e64 v108, null, v20, v252, vcc_lo
	.loc	1 220 16                        ; attention_bwd.py:220:16
	s_waitcnt vmcnt(0)
	s_clause 0x1
	global_load_u16 v18, v[18:19], off
	global_load_u16 v19, v[27:28], off
	scratch_load_b64 v[20:21], off, off offset:232 ; 8-byte Folded Reload
	s_waitcnt vmcnt(0)
	s_clause 0x2
	global_load_u16 v20, v[20:21], off
	global_load_u16 v21, v[29:30], off
	;; [unrolled: 1-line block ×3, first 2 shown]
	scratch_load_b64 v[23:24], off, off offset:240 ; 8-byte Folded Reload
	s_waitcnt vmcnt(0)
	s_clause 0x1f
	global_load_u16 v23, v[23:24], off
	global_load_u16 v24, v[33:34], off
	;; [unrolled: 1-line block ×32, first 2 shown]
	s_clause 0x10
	global_load_u16 v55, v[87:88], off
	global_load_u16 v56, v[97:98], off
	;; [unrolled: 1-line block ×17, first 2 shown]
	s_waitcnt vmcnt(0)
	s_waitcnt_vscnt null, 0x0
	s_barrier
	buffer_gl0_inv
	scratch_load_b32 v72, off, off offset:2176 ; 4-byte Folded Reload
	s_waitcnt vmcnt(0)
	ds_store_b16 v72, v8
	ds_store_b16 v72, v9 offset:1024
	ds_store_b16 v72, v16 offset:2048
	;; [unrolled: 1-line block ×15, first 2 shown]
	scratch_load_b32 v65, off, off offset:2188 ; 4-byte Folded Reload
	s_waitcnt vmcnt(0)
	ds_store_b16 v65, v10 offset:256
	ds_store_b16 v65, v11 offset:1280
	;; [unrolled: 1-line block ×16, first 2 shown]
	s_clause 0x1                            ; 8-byte Folded Reload
	scratch_load_b32 v66, off, off offset:2192
	scratch_load_b32 v67, off, off offset:2196
	s_waitcnt vmcnt(1)
	ds_store_b16 v66, v12 offset:512
	ds_store_b16 v66, v13 offset:1536
	;; [unrolled: 1-line block ×16, first 2 shown]
	s_waitcnt vmcnt(0)
	ds_store_b16 v67, v15 offset:768
	ds_store_b16 v67, v14 offset:1792
	;; [unrolled: 1-line block ×16, first 2 shown]
	s_waitcnt lgkmcnt(0)
	s_barrier
	buffer_gl0_inv
	.loc	1 222 17                        ; attention_bwd.py:222:17
	s_clause 0x1f
	global_load_u16 v8, v[196:197], off
	global_load_u16 v9, v[202:203], off
	;; [unrolled: 1-line block ×32, first 2 shown]
	s_clause 0x1f
	global_load_u16 v40, v[192:193], off
	global_load_u16 v41, v[204:205], off
	;; [unrolled: 1-line block ×32, first 2 shown]
	s_clause 0x7                            ; 32-byte Folded Reload
	scratch_load_b32 v75, off, off offset:2444
	scratch_load_b32 v69, off, off offset:2408
	scratch_load_b32 v74, off, off offset:2432
	scratch_load_b32 v73, off, off offset:2428
	scratch_load_b32 v71, off, off offset:2424
	scratch_load_b32 v70, off, off offset:2420
	scratch_load_b32 v68, off, off offset:2404
	scratch_load_b32 v7, off, off offset:2400
	.loc	1 220 16                        ; attention_bwd.py:220:16
	s_waitcnt vmcnt(6)
	ds_load_b128 v[197:200], v69
	ds_load_b128 v[189:192], v69 offset:8192
	ds_load_b128 v[193:196], v75 offset:8192
	ds_load_b128 v[201:204], v75
	s_waitcnt vmcnt(5)
	ds_load_b128 v[164:167], v74
	s_waitcnt vmcnt(4)
	ds_load_b128 v[160:163], v73
	ds_load_b128 v[148:151], v73 offset:8192
	ds_load_b128 v[152:155], v74 offset:8192
	s_waitcnt vmcnt(3)
	ds_load_b128 v[88:91], v71
	s_waitcnt vmcnt(1)
	ds_load_b128 v[144:147], v68
	ds_load_b128 v[84:87], v70
	ds_load_b128 v[76:79], v70 offset:8192
	ds_load_b128 v[80:83], v71 offset:8192
	s_waitcnt vmcnt(0)
	ds_load_b128 v[140:143], v7
	ds_load_b128 v[132:135], v7 offset:8192
	ds_load_b128 v[136:139], v68 offset:8192
	.loc	1 222 17                        ; attention_bwd.py:222:17
	s_waitcnt lgkmcnt(0)
	s_barrier
	buffer_gl0_inv
	ds_store_b16 v72, v8
	ds_store_b16 v72, v9 offset:1024
	ds_store_b16 v72, v16 offset:2048
	;; [unrolled: 1-line block ×63, first 2 shown]
	.loc	1 165 23                        ; attention_bwd.py:165:23
	scratch_load_b32 v0, off, off offset:1764 ; 4-byte Folded Reload
	s_waitcnt vmcnt(0)
	v_or_b32_e32 v0, s73, v0
	s_delay_alu instid0(VALU_DEP_1) | instskip(NEXT) | instid1(VALU_DEP_1)
	.loc	1 224 20                        ; attention_bwd.py:224:20
	v_ashrrev_i32_e32 v1, 31, v0
	v_lshlrev_b64 v[24:25], 2, v[0:1]
	s_delay_alu instid0(VALU_DEP_1) | instskip(NEXT) | instid1(VALU_DEP_1)
	v_add_co_u32 v0, vcc_lo, s62, v24
	v_add_co_ci_u32_e64 v1, null, s63, v25, vcc_lo
.Ltmp47:
	.loc	1 102 21                        ; attention_bwd.py:102:21 @[ attention_bwd.py:253:40 ]
	s_and_b32 vcc_lo, exec_lo, s2
.Ltmp48:
	.loc	1 222 17                        ; attention_bwd.py:222:17
	s_waitcnt lgkmcnt(0)
	s_barrier
	buffer_gl0_inv
.Ltmp49:
	.loc	1 105 30                        ; attention_bwd.py:105:30 @[ attention_bwd.py:253:40 ]
	global_load_b32 v0, v[0:1], off
.Ltmp50:
	.loc	1 222 17                        ; attention_bwd.py:222:17
	ds_load_b128 v[54:57], v75
	ds_load_b128 v[50:53], v69
	ds_load_b128 v[42:45], v69 offset:8192
	ds_load_b128 v[46:49], v75 offset:8192
	ds_load_b128 v[38:41], v74
	ds_load_b128 v[34:37], v73
	ds_load_b128 v[26:29], v73 offset:8192
	ds_load_b128 v[30:33], v74 offset:8192
	;; [unrolled: 4-line block ×4, first 2 shown]
.Ltmp51:
	.loc	1 105 30                        ; attention_bwd.py:105:30 @[ attention_bwd.py:253:40 ]
	scratch_load_b32 v1, off, off offset:2504 ; 4-byte Folded Reload
	s_waitcnt vmcnt(0)
	v_dual_mov_b32 v1, 0 :: v_dual_add_nc_u32 v8, v255, v1
	s_waitcnt lgkmcnt(0)
	s_barrier
	buffer_gl0_inv
	ds_store_b32 v8, v0
	s_waitcnt lgkmcnt(0)
	s_barrier
	buffer_gl0_inv
	s_clause 0x1                            ; 16-byte Folded Reload
	scratch_load_b64 v[97:98], off, off offset:1952
	scratch_load_b64 v[99:100], off, off offset:1960
	v_mov_b32_e32 v0, 0
	.loc	1 93 18                         ; attention_bwd.py:93:18 @[ attention_bwd.py:253:40 ]
	s_waitcnt vmcnt(1)
	v_add_co_u32 v17, s0, s71, v97
	s_delay_alu instid0(VALU_DEP_1)
	v_add_co_ci_u32_e64 v18, null, s72, v98, s0
	.loc	1 102 21                        ; attention_bwd.py:102:21 @[ attention_bwd.py:253:40 ]
	s_cbranch_vccnz .LBB0_80
; %bb.79:
	.loc	1 93 49                         ; attention_bwd.py:93:49 @[ attention_bwd.py:253:40 ]
	s_waitcnt vmcnt(0)
	v_add_co_u32 v1, vcc_lo, v17, v99
	s_delay_alu instid0(VALU_DEP_1)
	v_add_co_ci_u32_e64 v2, null, v18, v100, vcc_lo
	.loc	1 102 21                        ; attention_bwd.py:102:21 @[ attention_bwd.py:253:40 ]
	global_load_u16 v1, v[1:2], off
.LBB0_80:
	.loc	1 0 21 is_stmt 0                ; attention_bwd.py:0:21
	s_clause 0x1f                           ; 188-byte Folded Reload
	scratch_load_b64 v[101:102], off, off offset:1968
	scratch_load_b64 v[103:104], off, off offset:1976
	;; [unrolled: 1-line block ×15, first 2 shown]
	scratch_load_b32 v170, off, off offset:964
	scratch_load_b32 v169, off, off offset:968
	;; [unrolled: 1-line block ×17, first 2 shown]
	s_clause 0xc                            ; 52-byte Folded Reload
	scratch_load_b32 v251, off, off offset:1060
	scratch_load_b32 v5, off, off offset:1000
	;; [unrolled: 1-line block ×13, first 2 shown]
	.loc	1 102 21                        ; attention_bwd.py:102:21 @[ attention_bwd.py:253:40 ]
	s_and_b32 vcc_lo, exec_lo, s2
	s_clause 0x1                            ; 32-byte Folded Spill
	scratch_store_b128 off, v[26:29], off offset:1508
	scratch_store_b128 off, v[30:33], off offset:1524
	s_cbranch_vccnz .LBB0_82
; %bb.81:
	.loc	1 93 49 is_stmt 1               ; attention_bwd.py:93:49 @[ attention_bwd.py:253:40 ]
	s_waitcnt vmcnt(44)
	v_add_co_u32 v2, vcc_lo, v17, v101
	s_delay_alu instid0(VALU_DEP_1)
	v_add_co_ci_u32_e64 v3, null, v18, v102, vcc_lo
	.loc	1 102 21                        ; attention_bwd.py:102:21 @[ attention_bwd.py:253:40 ]
	global_load_u16 v0, v[2:3], off
.LBB0_82:
	.loc	1 0 21 is_stmt 0                ; attention_bwd.py:0:21
	scratch_load_b32 v30, off, off offset:1732 ; 4-byte Folded Reload
	v_dual_mov_b32 v2, 0 :: v_dual_mov_b32 v3, 0
	.loc	1 102 21                        ; attention_bwd.py:102:21 @[ attention_bwd.py:253:40 ]
	s_and_b32 vcc_lo, exec_lo, s2
	s_cbranch_vccz .LBB0_126
; %bb.83:
	s_and_b32 vcc_lo, exec_lo, s2
	s_cbranch_vccz .LBB0_127
.LBB0_84:
	.loc	1 0 21                          ; attention_bwd.py:0:21
	s_waitcnt vmcnt(12)
	v_dual_mov_b32 v4, 0 :: v_dual_mov_b32 v5, 0
	.loc	1 102 21                        ; attention_bwd.py:102:21 @[ attention_bwd.py:253:40 ]
	s_and_b32 vcc_lo, exec_lo, s2
	s_cbranch_vccz .LBB0_128
.LBB0_85:
	s_and_b32 vcc_lo, exec_lo, s2
	s_clause 0x1                            ; 32-byte Folded Spill
	scratch_store_b128 off, v[9:12], off offset:1476
	scratch_store_b128 off, v[13:16], off offset:1492
	s_cbranch_vccz .LBB0_129
.LBB0_86:
	.loc	1 0 21                          ; attention_bwd.py:0:21
	s_waitcnt vmcnt(10)
	v_dual_mov_b32 v6, 0 :: v_dual_mov_b32 v7, 0
	.loc	1 102 21                        ; attention_bwd.py:102:21 @[ attention_bwd.py:253:40 ]
	s_and_b32 vcc_lo, exec_lo, s2
	s_cbranch_vccz .LBB0_130
.LBB0_87:
	s_and_b32 vcc_lo, exec_lo, s2
	s_cbranch_vccz .LBB0_131
.LBB0_88:
	.loc	1 0 21                          ; attention_bwd.py:0:21
	v_dual_mov_b32 v9, 0 :: v_dual_mov_b32 v10, 0
	.loc	1 102 21                        ; attention_bwd.py:102:21 @[ attention_bwd.py:253:40 ]
	s_and_b32 vcc_lo, exec_lo, s2
	s_cbranch_vccz .LBB0_132
.LBB0_89:
	s_and_b32 vcc_lo, exec_lo, s2
	s_cbranch_vccz .LBB0_133
.LBB0_90:
	.loc	1 0 21                          ; attention_bwd.py:0:21
	v_dual_mov_b32 v11, 0 :: v_dual_mov_b32 v12, 0
	.loc	1 102 21                        ; attention_bwd.py:102:21 @[ attention_bwd.py:253:40 ]
	s_and_b32 vcc_lo, exec_lo, s2
	s_cbranch_vccz .LBB0_134
.LBB0_91:
	s_and_b32 vcc_lo, exec_lo, s2
	s_cbranch_vccz .LBB0_135
.LBB0_92:
	.loc	1 0 21                          ; attention_bwd.py:0:21
	v_dual_mov_b32 v13, 0 :: v_dual_mov_b32 v14, 0
	.loc	1 102 21                        ; attention_bwd.py:102:21 @[ attention_bwd.py:253:40 ]
	s_and_b32 vcc_lo, exec_lo, s2
	s_cbranch_vccz .LBB0_136
.LBB0_93:
	s_and_b32 vcc_lo, exec_lo, s2
	s_cbranch_vccz .LBB0_137
.LBB0_94:
	.loc	1 0 21                          ; attention_bwd.py:0:21
	v_dual_mov_b32 v15, 0 :: v_dual_mov_b32 v16, 0
	.loc	1 102 21                        ; attention_bwd.py:102:21 @[ attention_bwd.py:253:40 ]
	s_and_b32 vcc_lo, exec_lo, s2
	s_cbranch_vccz .LBB0_138
.LBB0_95:
	s_and_b32 vcc_lo, exec_lo, s2
	s_cbranch_vccnz .LBB0_97
.LBB0_96:
	.loc	1 93 49 is_stmt 1               ; attention_bwd.py:93:49 @[ attention_bwd.py:253:40 ]
	v_add_co_u32 v17, vcc_lo, v17, v129
	s_delay_alu instid0(VALU_DEP_1)
	v_add_co_ci_u32_e64 v18, null, v18, v130, vcc_lo
	.loc	1 102 21                        ; attention_bwd.py:102:21 @[ attention_bwd.py:253:40 ]
	global_load_u16 v15, v[17:18], off
.LBB0_97:
	.loc	1 94 18                         ; attention_bwd.py:94:18 @[ attention_bwd.py:253:40 ]
	v_add_co_u32 v26, vcc_lo, s35, v97
	s_delay_alu instid0(VALU_DEP_1)
	v_add_co_ci_u32_e64 v27, null, s70, v98, vcc_lo
	v_dual_mov_b32 v17, 0 :: v_dual_mov_b32 v18, 0
	.loc	1 103 21                        ; attention_bwd.py:103:21 @[ attention_bwd.py:253:40 ]
	s_and_b32 vcc_lo, exec_lo, s2
	s_cbranch_vccz .LBB0_139
; %bb.98:
	s_and_b32 vcc_lo, exec_lo, s2
	s_cbranch_vccz .LBB0_140
.LBB0_99:
	.loc	1 0 21 is_stmt 0                ; attention_bwd.py:0:21
	s_waitcnt vmcnt(9)
	v_dual_mov_b32 v19, 0 :: v_dual_mov_b32 v20, 0
	.loc	1 103 21                        ; attention_bwd.py:103:21 @[ attention_bwd.py:253:40 ]
	s_and_b32 vcc_lo, exec_lo, s2
	s_cbranch_vccz .LBB0_141
.LBB0_100:
	s_and_b32 vcc_lo, exec_lo, s2
	s_cbranch_vccz .LBB0_142
.LBB0_101:
	.loc	1 0 21                          ; attention_bwd.py:0:21
	s_waitcnt vmcnt(6)
	v_dual_mov_b32 v21, 0 :: v_dual_mov_b32 v22, 0
	.loc	1 103 21                        ; attention_bwd.py:103:21 @[ attention_bwd.py:253:40 ]
	s_and_b32 vcc_lo, exec_lo, s2
	s_cbranch_vccz .LBB0_143
.LBB0_102:
	s_and_b32 vcc_lo, exec_lo, s2
	s_cbranch_vccz .LBB0_144
.LBB0_103:
	.loc	1 0 21                          ; attention_bwd.py:0:21
	v_dual_mov_b32 v23, 0 :: v_dual_mov_b32 v32, 0
	.loc	1 103 21                        ; attention_bwd.py:103:21 @[ attention_bwd.py:253:40 ]
	s_and_b32 vcc_lo, exec_lo, s2
	s_cbranch_vccz .LBB0_145
.LBB0_104:
	s_and_b32 vcc_lo, exec_lo, s2
	s_clause 0x1                            ; 32-byte Folded Spill
	scratch_store_b128 off, v[34:37], off offset:1540
	scratch_store_b128 off, v[38:41], off offset:1556
	s_cbranch_vccz .LBB0_146
.LBB0_105:
	.loc	1 0 21                          ; attention_bwd.py:0:21
	v_dual_mov_b32 v33, 0 :: v_dual_mov_b32 v34, 0
	.loc	1 103 21                        ; attention_bwd.py:103:21 @[ attention_bwd.py:253:40 ]
	s_and_b32 vcc_lo, exec_lo, s2
	s_cbranch_vccz .LBB0_147
.LBB0_106:
	s_and_b32 vcc_lo, exec_lo, s2
	s_cbranch_vccz .LBB0_148
.LBB0_107:
	.loc	1 0 21                          ; attention_bwd.py:0:21
	v_dual_mov_b32 v35, 0 :: v_dual_mov_b32 v36, 0
	.loc	1 103 21                        ; attention_bwd.py:103:21 @[ attention_bwd.py:253:40 ]
	s_and_b32 vcc_lo, exec_lo, s2
	s_cbranch_vccz .LBB0_149
.LBB0_108:
	s_and_b32 vcc_lo, exec_lo, s2
	s_cbranch_vccz .LBB0_150
.LBB0_109:
	.loc	1 0 21                          ; attention_bwd.py:0:21
	v_dual_mov_b32 v37, 0 :: v_dual_mov_b32 v38, 0
	.loc	1 103 21                        ; attention_bwd.py:103:21 @[ attention_bwd.py:253:40 ]
	s_and_b32 vcc_lo, exec_lo, s2
	s_cbranch_vccz .LBB0_151
.LBB0_110:
	s_and_b32 vcc_lo, exec_lo, s2
	s_cbranch_vccnz .LBB0_112
.LBB0_111:
	.loc	1 94 49 is_stmt 1               ; attention_bwd.py:94:49 @[ attention_bwd.py:253:40 ]
	v_add_co_u32 v28, vcc_lo, v26, v125
	s_delay_alu instid0(VALU_DEP_1)
	v_add_co_ci_u32_e64 v29, null, v27, v126, vcc_lo
	.loc	1 103 21                        ; attention_bwd.py:103:21 @[ attention_bwd.py:253:40 ]
	global_load_u16 v37, v[28:29], off
.LBB0_112:
	.loc	1 0 21 is_stmt 0                ; attention_bwd.py:0:21
	scratch_load_b32 v28, off, off offset:1868 ; 4-byte Folded Reload
	s_waitcnt vmcnt(1)
	v_lshl_add_u32 v29, v30, 2, 0
	v_mov_b32_e32 v96, 0
	.loc	1 103 21                        ; attention_bwd.py:103:21 @[ attention_bwd.py:253:40 ]
	s_and_b32 vcc_lo, exec_lo, s2
	s_waitcnt vmcnt(0)
	v_dual_mov_b32 v39, 0 :: v_dual_lshlrev_b32 v28, 1, v28
	s_cbranch_vccnz .LBB0_114
; %bb.113:
	.loc	1 94 49 is_stmt 1               ; attention_bwd.py:94:49 @[ attention_bwd.py:253:40 ]
	v_add_co_u32 v30, vcc_lo, v26, v127
	s_delay_alu instid0(VALU_DEP_1)
	v_add_co_ci_u32_e64 v31, null, v27, v128, vcc_lo
	.loc	1 103 21                        ; attention_bwd.py:103:21 @[ attention_bwd.py:253:40 ]
	global_load_u16 v96, v[30:31], off
.LBB0_114:
	.loc	1 0 21 is_stmt 0                ; attention_bwd.py:0:21
	s_delay_alu instid0(VALU_DEP_1)
	v_add_nc_u32_e32 v28, v29, v28
	.loc	1 103 21                        ; attention_bwd.py:103:21 @[ attention_bwd.py:253:40 ]
	s_and_b32 vcc_lo, exec_lo, s2
	s_clause 0xb                            ; 192-byte Folded Spill
	scratch_store_b128 off, v[189:192], off offset:1668
	scratch_store_b128 off, v[193:196], off offset:1684
	;; [unrolled: 1-line block ×6, first 2 shown]
	scratch_store_b128 off, v[76:79], off
	scratch_store_b128 off, v[80:83], off offset:16
	scratch_store_b128 off, v[50:53], off offset:1604
	;; [unrolled: 1-line block ×5, first 2 shown]
	s_cbranch_vccnz .LBB0_116
; %bb.115:
	.loc	1 94 49 is_stmt 1               ; attention_bwd.py:94:49 @[ attention_bwd.py:253:40 ]
	v_add_co_u32 v26, vcc_lo, v26, v129
	s_delay_alu instid0(VALU_DEP_1)
	v_add_co_ci_u32_e64 v27, null, v27, v130, vcc_lo
	.loc	1 103 21                        ; attention_bwd.py:103:21 @[ attention_bwd.py:253:40 ]
	global_load_u16 v39, v[26:27], off
.LBB0_116:
	.loc	1 96 21                         ; attention_bwd.py:96:21 @[ attention_bwd.py:253:40 ]
	v_add_co_u32 v24, vcc_lo, s58, v24
	s_delay_alu instid0(VALU_DEP_1)
	v_add_co_ci_u32_e64 v25, null, s59, v25, vcc_lo
	ds_load_2addr_stride64_b32 v[238:239], v28 offset1:1
	s_clause 0x3                            ; 64-byte Folded Spill
	scratch_store_b128 off, v[197:200], off offset:1700
	scratch_store_b128 off, v[201:204], off offset:1716
	;; [unrolled: 1-line block ×4, first 2 shown]
	v_mov_b32_e32 v87, 0
	.loc	1 113 23                        ; attention_bwd.py:113:23 @[ attention_bwd.py:253:40 ]
	global_load_b32 v24, v[24:25], off
	s_mov_b32 s4, 0
	.loc	1 101 25                        ; attention_bwd.py:101:25 @[ attention_bwd.py:253:40 ]
	s_and_not1_b32 vcc_lo, exec_lo, s76
	v_mov_b32_e32 v86, v87
	v_mov_b32_e32 v85, v87
	;; [unrolled: 1-line block ×61, first 2 shown]
	.loc	1 113 23                        ; attention_bwd.py:113:23 @[ attention_bwd.py:253:40 ]
	s_waitcnt vmcnt(0) lgkmcnt(0)
	s_waitcnt_vscnt null, 0x0
	s_barrier
	buffer_gl0_inv
	ds_store_b32 v8, v24
	s_waitcnt lgkmcnt(0)
	s_barrier
	buffer_gl0_inv
	ds_load_2addr_stride64_b32 v[236:237], v28 offset1:1
	v_mov_b32_e32 v28, v87
	s_clause 0x1                            ; 32-byte Folded Spill
	scratch_store_b128 off, v[80:83], off offset:192
	scratch_store_b128 off, v[84:87], off offset:208
	v_mov_b32_e32 v24, v87
	.loc	1 102 21                        ; attention_bwd.py:102:21 @[ attention_bwd.py:253:40 ]
	s_waitcnt lgkmcnt(0)
	s_waitcnt_vscnt null, 0x0
	s_barrier
	buffer_gl0_inv
	ds_store_b16 v255, v1
	ds_store_b16 v255, v0 offset:256
	ds_store_b16 v255, v3 offset:512
	;; [unrolled: 1-line block ×15, first 2 shown]
	.loc	1 103 21                        ; attention_bwd.py:103:21 @[ attention_bwd.py:253:40 ]
	ds_store_b16 v255, v18 offset:4096
	ds_store_b16 v255, v17 offset:4352
	;; [unrolled: 1-line block ×16, first 2 shown]
	.loc	1 101 25                        ; attention_bwd.py:101:25 @[ attention_bwd.py:253:40 ]
	s_cbranch_vccnz .LBB0_120
; %bb.117:                              ; %.lr.ph330
	v_add_co_u32 v0, vcc_lo, v129, v97
	s_ashr_i32 s61, s60, 31
	v_add_co_ci_u32_e64 v1, null, v130, v98, vcc_lo
	v_add_co_u32 v2, vcc_lo, v127, v97
	s_lshl_b64 s[0:1], s[60:61], 1
	v_add_co_ci_u32_e64 v3, null, v128, v98, vcc_lo
	v_add_co_u32 v0, vcc_lo, v0, s0
	s_delay_alu instid0(VALU_DEP_1) | instskip(SKIP_1) | instid1(VALU_DEP_1)
	v_add_co_ci_u32_e64 v1, null, s1, v1, vcc_lo
	v_add_co_u32 v2, vcc_lo, v2, s0
	v_add_co_ci_u32_e64 v3, null, s1, v3, vcc_lo
	s_delay_alu instid0(VALU_DEP_4) | instskip(NEXT) | instid1(VALU_DEP_1)
	v_add_co_u32 v45, vcc_lo, s56, v0
	v_add_co_ci_u32_e64 v96, null, s57, v1, vcc_lo
	s_delay_alu instid0(VALU_DEP_4) | instskip(NEXT) | instid1(VALU_DEP_1)
	v_add_co_u32 v39, vcc_lo, s56, v2
	v_add_co_ci_u32_e64 v148, null, s57, v3, vcc_lo
	v_add_co_u32 v4, vcc_lo, v125, v97
	s_delay_alu instid0(VALU_DEP_1) | instskip(SKIP_1) | instid1(VALU_DEP_1)
	v_add_co_ci_u32_e64 v5, null, v126, v98, vcc_lo
	v_add_co_u32 v6, vcc_lo, v123, v97
	v_add_co_ci_u32_e64 v7, null, v124, v98, vcc_lo
	s_delay_alu instid0(VALU_DEP_4) | instskip(NEXT) | instid1(VALU_DEP_1)
	v_add_co_u32 v4, vcc_lo, v4, s0
	v_add_co_ci_u32_e64 v5, null, s1, v5, vcc_lo
	s_delay_alu instid0(VALU_DEP_4) | instskip(NEXT) | instid1(VALU_DEP_1)
	v_add_co_u32 v6, vcc_lo, v6, s0
	v_add_co_ci_u32_e64 v7, null, s1, v7, vcc_lo
	s_delay_alu instid0(VALU_DEP_4) | instskip(NEXT) | instid1(VALU_DEP_1)
	v_add_co_u32 v149, vcc_lo, s56, v4
	v_add_co_ci_u32_e64 v41, null, s57, v5, vcc_lo
	s_delay_alu instid0(VALU_DEP_4) | instskip(NEXT) | instid1(VALU_DEP_1)
	v_add_co_u32 v43, vcc_lo, s56, v6
	v_add_co_ci_u32_e64 v37, null, s57, v7, vcc_lo
	v_add_co_u32 v8, vcc_lo, v121, v97
	s_delay_alu instid0(VALU_DEP_1) | instskip(SKIP_1) | instid1(VALU_DEP_1)
	v_add_co_ci_u32_e64 v9, null, v122, v98, vcc_lo
	v_add_co_u32 v10, vcc_lo, v119, v97
	v_add_co_ci_u32_e64 v11, null, v120, v98, vcc_lo
	s_delay_alu instid0(VALU_DEP_4) | instskip(NEXT) | instid1(VALU_DEP_1)
	v_add_co_u32 v8, vcc_lo, v8, s0
	v_add_co_ci_u32_e64 v9, null, s1, v9, vcc_lo
	s_delay_alu instid0(VALU_DEP_4) | instskip(NEXT) | instid1(VALU_DEP_1)
	;; [unrolled: 17-line block ×7, first 2 shown]
	v_add_co_u32 v30, vcc_lo, v30, s0
	v_add_co_ci_u32_e64 v31, null, s1, v31, vcc_lo
	s_delay_alu instid0(VALU_DEP_4) | instskip(NEXT) | instid1(VALU_DEP_1)
	v_add_co_u32 v97, vcc_lo, s56, v28
	v_add_co_ci_u32_e64 v98, null, s57, v29, vcc_lo
	s_delay_alu instid0(VALU_DEP_4) | instskip(NEXT) | instid1(VALU_DEP_1)
	v_add_co_u32 v99, vcc_lo, s56, v30
	v_add_co_ci_u32_e64 v100, null, s57, v31, vcc_lo
	v_add_co_u32 v112, vcc_lo, s50, v0
	s_delay_alu instid0(VALU_DEP_1) | instskip(SKIP_1) | instid1(VALU_DEP_1)
	v_add_co_ci_u32_e64 v113, null, s51, v1, vcc_lo
	v_add_co_u32 v114, vcc_lo, s50, v2
	v_add_co_ci_u32_e64 v115, null, s51, v3, vcc_lo
	v_add_co_u32 v110, vcc_lo, s50, v4
	s_delay_alu instid0(VALU_DEP_1) | instskip(SKIP_1) | instid1(VALU_DEP_1)
	v_add_co_ci_u32_e64 v116, null, s51, v5, vcc_lo
	;; [unrolled: 5-line block ×3, first 2 shown]
	v_add_co_u32 v252, vcc_lo, s50, v10
	v_add_co_ci_u32_e64 v253, null, s51, v11, vcc_lo
	v_add_co_u32 v232, vcc_lo, s50, v12
	s_delay_alu instid0(VALU_DEP_1)
	v_add_co_ci_u32_e64 v233, null, s51, v13, vcc_lo
	v_add_co_u32 v234, vcc_lo, s50, v14
	s_clause 0x9                            ; 160-byte Folded Spill
	scratch_store_b128 off, v[240:243], off offset:96
	scratch_store_b128 off, v[244:247], off offset:112
	;; [unrolled: 1-line block ×10, first 2 shown]
	v_add_co_ci_u32_e64 v235, null, s51, v15, vcc_lo
	s_clause 0x9                            ; 160-byte Folded Reload
	scratch_load_b128 v[8:11], off, off offset:1572
	scratch_load_b128 v[12:15], off, off offset:1588
	;; [unrolled: 1-line block ×10, first 2 shown]
	v_add_co_u32 v16, vcc_lo, s50, v16
	s_delay_alu instid0(VALU_DEP_1) | instskip(SKIP_1) | instid1(VALU_DEP_1)
	v_add_co_ci_u32_e64 v17, null, s51, v17, vcc_lo
	v_add_co_u32 v18, vcc_lo, s50, v18
	v_add_co_ci_u32_e64 v19, null, s51, v19, vcc_lo
	v_add_co_u32 v20, vcc_lo, s50, v20
	s_delay_alu instid0(VALU_DEP_1) | instskip(SKIP_1) | instid1(VALU_DEP_1)
	v_add_co_ci_u32_e64 v21, null, s51, v21, vcc_lo
	v_add_co_u32 v22, vcc_lo, s50, v22
	v_add_co_ci_u32_e64 v23, null, s51, v23, vcc_lo
	v_add_co_u32 v204, vcc_lo, s50, v24
	s_delay_alu instid0(VALU_DEP_1) | instskip(SKIP_4) | instid1(VALU_DEP_1)
	v_add_co_ci_u32_e64 v203, null, s51, v25, vcc_lo
	v_add_co_u32 v36, vcc_lo, s50, v26
	v_mov_b32_e32 v24, 0
	v_add_co_ci_u32_e64 v38, null, s51, v27, vcc_lo
	v_add_co_u32 v101, vcc_lo, s50, v28
	v_add_co_ci_u32_e64 v102, null, s51, v29, vcc_lo
	v_add_co_u32 v107, vcc_lo, s50, v30
	s_delay_alu instid0(VALU_DEP_1)
	v_add_co_ci_u32_e64 v108, null, s51, v31, vcc_lo
	v_mov_b32_e32 v25, v24
	v_mov_b32_e32 v26, v24
	v_mov_b32_e32 v27, v24
	v_mov_b32_e32 v28, v24
	v_mov_b32_e32 v29, v24
	v_mov_b32_e32 v30, v24
	v_mov_b32_e32 v31, v24
	v_mov_b32_e32 v72, v24
	v_mov_b32_e32 v73, v24
	v_mov_b32_e32 v74, v24
	v_mov_b32_e32 v75, v24
	v_mov_b32_e32 v76, v24
	v_mov_b32_e32 v77, v24
	v_mov_b32_e32 v78, v24
	v_mov_b32_e32 v79, v24
	v_mov_b32_e32 v64, v24
	v_mov_b32_e32 v65, v24
	v_mov_b32_e32 v66, v24
	v_mov_b32_e32 v67, v24
	v_mov_b32_e32 v68, v24
	v_mov_b32_e32 v69, v24
	v_mov_b32_e32 v70, v24
	v_mov_b32_e32 v71, v24
	v_mov_b32_e32 v56, v24
	v_mov_b32_e32 v57, v24
	v_mov_b32_e32 v58, v24
	v_mov_b32_e32 v59, v24
	v_mov_b32_e32 v60, v24
	v_mov_b32_e32 v61, v24
	v_mov_b32_e32 v62, v24
	v_mov_b32_e32 v63, v24
	v_mov_b32_e32 v48, v24
	v_mov_b32_e32 v49, v24
	v_mov_b32_e32 v50, v24
	v_mov_b32_e32 v51, v24
	v_mov_b32_e32 v52, v24
	v_mov_b32_e32 v53, v24
	v_mov_b32_e32 v54, v24
	v_mov_b32_e32 v55, v24
	v_mov_b32_e32 v88, v24
	v_mov_b32_e32 v89, v24
	v_mov_b32_e32 v90, v24
	v_mov_b32_e32 v91, v24
	v_mov_b32_e32 v92, v24
	v_mov_b32_e32 v93, v24
	v_mov_b32_e32 v94, v24
	v_mov_b32_e32 v95, v24
	v_mov_b32_e32 v80, v24
	v_mov_b32_e32 v81, v24
	v_mov_b32_e32 v82, v24
	v_mov_b32_e32 v83, v24
	v_mov_b32_e32 v84, v24
	v_mov_b32_e32 v85, v24
	v_mov_b32_e32 v86, v24
	v_mov_b32_e32 v87, v24
	v_mov_b32_e32 v0, v24
	v_mov_b32_e32 v1, v24
	v_mov_b32_e32 v2, v24
	v_mov_b32_e32 v3, v24
	v_mov_b32_e32 v4, v24
	v_mov_b32_e32 v5, v24
	v_mov_b32_e32 v6, v24
	v_mov_b32_e32 v7, v24
	s_max_i32 s3, s77, 1
	s_mov_b32 s5, s4
	s_mov_b32 s6, s4
	s_mov_b32 s7, s4
	s_mov_b32 s8, s4
	s_mov_b32 s9, s4
	s_mov_b32 s10, s4
	s_mov_b32 s11, s4
	s_mov_b32 s12, 0x76543210
.LBB0_118:                              ; =>This Inner Loop Header: Depth=1
	.loc	1 0 25 is_stmt 0                ; attention_bwd.py:0:25
	s_clause 0x1f                           ; 128-byte Folded Spill
	scratch_store_b32 off, v160, off offset:924
	scratch_store_b32 off, v203, off offset:920
	;; [unrolled: 1-line block ×32, first 2 shown]
	s_clause 0x8                            ; 36-byte Folded Spill
	scratch_store_b32 off, v41, off offset:376
	scratch_store_b32 off, v106, off offset:344
	;; [unrolled: 1-line block ×9, first 2 shown]
	.loc	1 120 19 is_stmt 1              ; attention_bwd.py:120:19 @[ attention_bwd.py:253:40 ]
	v_add_co_u32 v96, vcc_lo, v107, s52
	s_delay_alu instid0(VALU_DEP_1) | instskip(SKIP_4) | instid1(VALU_DEP_1)
	v_add_co_ci_u32_e64 v97, null, s53, v108, vcc_lo
	.loc	1 104 23                        ; attention_bwd.py:104:23 @[ attention_bwd.py:253:40 ]
	v_dual_mov_b32 v215, s11 :: v_dual_mov_b32 v214, s10
	v_dual_mov_b32 v213, s9 :: v_dual_mov_b32 v212, s8
	.loc	1 102 21                        ; attention_bwd.py:102:21 @[ attention_bwd.py:253:40 ]
	global_load_u16 v177, v[96:97], off
	.loc	1 120 19                        ; attention_bwd.py:120:19 @[ attention_bwd.py:253:40 ]
	v_add_co_u32 v97, vcc_lo, v101, s52
	v_add_co_ci_u32_e64 v98, null, s53, v102, vcc_lo
	.loc	1 104 23                        ; attention_bwd.py:104:23 @[ attention_bwd.py:253:40 ]
	v_dual_mov_b32 v211, s7 :: v_dual_mov_b32 v210, s6
	v_dual_mov_b32 v209, s5 :: v_dual_mov_b32 v208, s4
	.loc	1 102 21                        ; attention_bwd.py:102:21 @[ attention_bwd.py:253:40 ]
	global_load_u16 v178, v[97:98], off
	.loc	1 120 19                        ; attention_bwd.py:120:19 @[ attention_bwd.py:253:40 ]
	v_add_co_u32 v98, vcc_lo, v36, s52
	s_delay_alu instid0(VALU_DEP_1) | instskip(SKIP_4) | instid1(VALU_DEP_1)
	v_add_co_ci_u32_e64 v99, null, s53, v38, vcc_lo
	v_dual_mov_b32 v34, v18 :: v_dual_mov_b32 v35, v19
	v_dual_mov_b32 v33, v36 :: v_dual_mov_b32 v32, v22
	.loc	1 102 21                        ; attention_bwd.py:102:21 @[ attention_bwd.py:253:40 ]
	global_load_u16 v179, v[98:99], off
	.loc	1 120 19                        ; attention_bwd.py:120:19 @[ attention_bwd.py:253:40 ]
	v_add_co_u32 v99, vcc_lo, v204, s52
	v_add_co_ci_u32_e64 v100, null, s53, v203, vcc_lo
	v_dual_mov_b32 v36, v20 :: v_dual_mov_b32 v37, v21
	v_mov_b32_e32 v39, v23
	.loc	1 102 21                        ; attention_bwd.py:102:21 @[ attention_bwd.py:253:40 ]
	global_load_u16 v180, v[99:100], off
	.loc	1 120 19                        ; attention_bwd.py:120:19 @[ attention_bwd.py:253:40 ]
	v_add_co_u32 v100, vcc_lo, v22, s52
	s_delay_alu instid0(VALU_DEP_1) | instskip(SKIP_1) | instid1(SALU_CYCLE_1)
	v_add_co_ci_u32_e64 v101, null, s53, v23, vcc_lo
	.loc	1 101 25                        ; attention_bwd.py:101:25 @[ attention_bwd.py:253:40 ]
	s_add_i32 s3, s3, -1
	s_cmp_lg_u32 s3, 0
	.loc	1 102 21                        ; attention_bwd.py:102:21 @[ attention_bwd.py:253:40 ]
	global_load_u16 v181, v[100:101], off
	.loc	1 120 19                        ; attention_bwd.py:120:19 @[ attention_bwd.py:253:40 ]
	v_add_co_u32 v101, vcc_lo, v20, s52
	s_delay_alu instid0(VALU_DEP_1) | instskip(SKIP_2) | instid1(VALU_DEP_1)
	v_add_co_ci_u32_e64 v102, null, s53, v21, vcc_lo
	.loc	1 102 21                        ; attention_bwd.py:102:21 @[ attention_bwd.py:253:40 ]
	global_load_u16 v182, v[101:102], off
	.loc	1 120 19                        ; attention_bwd.py:120:19 @[ attention_bwd.py:253:40 ]
	v_add_co_u32 v102, vcc_lo, v18, s52
	v_add_co_ci_u32_e64 v103, null, s53, v19, vcc_lo
	.loc	1 102 21                        ; attention_bwd.py:102:21 @[ attention_bwd.py:253:40 ]
	global_load_u16 v183, v[102:103], off
	.loc	1 120 19                        ; attention_bwd.py:120:19 @[ attention_bwd.py:253:40 ]
	v_add_co_u32 v103, vcc_lo, v16, s52
	s_delay_alu instid0(VALU_DEP_1) | instskip(SKIP_2) | instid1(VALU_DEP_1)
	v_add_co_ci_u32_e64 v104, null, s53, v17, vcc_lo
	.loc	1 102 21                        ; attention_bwd.py:102:21 @[ attention_bwd.py:253:40 ]
	global_load_u16 v16, v[103:104], off
	.loc	1 120 19                        ; attention_bwd.py:120:19 @[ attention_bwd.py:253:40 ]
	v_add_co_u32 v104, vcc_lo, v234, s52
	v_add_co_ci_u32_e64 v105, null, s53, v235, vcc_lo
	s_waitcnt vmcnt(0)
	scratch_store_b32 off, v16, off offset:928 ; 4-byte Folded Spill
	.loc	1 102 21                        ; attention_bwd.py:102:21 @[ attention_bwd.py:253:40 ]
	global_load_u16 v16, v[104:105], off
	.loc	1 120 19                        ; attention_bwd.py:120:19 @[ attention_bwd.py:253:40 ]
	v_add_co_u32 v105, vcc_lo, v232, s52
	s_delay_alu instid0(VALU_DEP_1) | instskip(SKIP_4) | instid1(VALU_DEP_1)
	v_add_co_ci_u32_e64 v106, null, s53, v233, vcc_lo
	s_waitcnt vmcnt(0)
	scratch_store_b32 off, v16, off offset:932 ; 4-byte Folded Spill
	.loc	1 102 21                        ; attention_bwd.py:102:21 @[ attention_bwd.py:253:40 ]
	global_load_u16 v16, v[105:106], off
	.loc	1 120 19                        ; attention_bwd.py:120:19 @[ attention_bwd.py:253:40 ]
	v_add_co_u32 v106, vcc_lo, v252, s52
	v_add_co_ci_u32_e64 v107, null, s53, v253, vcc_lo
	s_waitcnt vmcnt(0)
	scratch_store_b32 off, v16, off offset:936 ; 4-byte Folded Spill
	.loc	1 102 21                        ; attention_bwd.py:102:21 @[ attention_bwd.py:253:40 ]
	global_load_u16 v16, v[106:107], off
	.loc	1 120 19                        ; attention_bwd.py:120:19 @[ attention_bwd.py:253:40 ]
	v_add_co_u32 v107, vcc_lo, v248, s52
	s_delay_alu instid0(VALU_DEP_1) | instskip(SKIP_4) | instid1(VALU_DEP_1)
	v_add_co_ci_u32_e64 v108, null, s53, v251, vcc_lo
	s_waitcnt vmcnt(0)
	scratch_store_b32 off, v16, off offset:940 ; 4-byte Folded Spill
	.loc	1 102 21                        ; attention_bwd.py:102:21 @[ attention_bwd.py:253:40 ]
	global_load_u16 v16, v[107:108], off
	.loc	1 120 19                        ; attention_bwd.py:120:19 @[ attention_bwd.py:253:40 ]
	v_add_co_u32 v108, vcc_lo, v109, s52
	v_add_co_ci_u32_e64 v109, null, s53, v117, vcc_lo
	v_mov_b32_e32 v107, v42
	s_waitcnt vmcnt(0)
	scratch_store_b32 off, v16, off offset:944 ; 4-byte Folded Spill
	.loc	1 102 21                        ; attention_bwd.py:102:21 @[ attention_bwd.py:253:40 ]
	global_load_u16 v16, v[108:109], off
	.loc	1 120 19                        ; attention_bwd.py:120:19 @[ attention_bwd.py:253:40 ]
	v_add_co_u32 v109, vcc_lo, v110, s52
	s_delay_alu instid0(VALU_DEP_1)
	v_add_co_ci_u32_e64 v110, null, s53, v116, vcc_lo
	v_mov_b32_e32 v108, v44
	s_waitcnt vmcnt(0)
	scratch_store_b32 off, v16, off offset:948 ; 4-byte Folded Spill
	.loc	1 102 21                        ; attention_bwd.py:102:21 @[ attention_bwd.py:253:40 ]
	global_load_u16 v16, v[109:110], off
	.loc	1 120 19                        ; attention_bwd.py:120:19 @[ attention_bwd.py:253:40 ]
	v_add_co_u32 v110, vcc_lo, v114, s52
	s_delay_alu instid0(VALU_DEP_1)
	;; [unrolled: 9-line block ×3, first 2 shown]
	v_add_co_ci_u32_e64 v112, null, s53, v113, vcc_lo
	v_mov_b32_e32 v110, v165
	s_waitcnt vmcnt(0)
	scratch_store_b32 off, v16, off offset:956 ; 4-byte Folded Spill
	.loc	1 102 21                        ; attention_bwd.py:102:21 @[ attention_bwd.py:253:40 ]
	global_load_u16 v16, v[111:112], off
	v_mov_b32_e32 v111, v162
	.loc	1 117 25                        ; attention_bwd.py:117:25 @[ attention_bwd.py:253:40 ]
	s_waitcnt vmcnt(0)
	scratch_store_b32 off, v16, off offset:960 ; 4-byte Folded Spill
	s_waitcnt lgkmcnt(0)
	s_waitcnt_vscnt null, 0x0
	s_barrier
	buffer_gl0_inv
	s_clause 0xe                            ; 60-byte Folded Reload
	scratch_load_b32 v114, off, off offset:1216
	scratch_load_b32 v97, off, off offset:1460
	;; [unrolled: 1-line block ×15, first 2 shown]
	.loc	1 102 21                        ; attention_bwd.py:102:21 @[ attention_bwd.py:253:40 ]
	s_waitcnt vmcnt(0)
	ds_load_u16 v206, v126
	.loc	1 103 21                        ; attention_bwd.py:103:21 @[ attention_bwd.py:253:40 ]
	ds_load_u16 v115, v114 offset:4096
	ds_load_u16 v121, v97 offset:4096
	;; [unrolled: 1-line block ×4, first 2 shown]
	.loc	1 102 21                        ; attention_bwd.py:102:21 @[ attention_bwd.py:253:40 ]
	ds_load_u16 v201, v97
	ds_load_u16 v207, v100
	;; [unrolled: 1-line block ×4, first 2 shown]
	scratch_load_b32 v100, off, off offset:1200 ; 4-byte Folded Reload
	ds_load_u16 v197, v117
	.loc	1 103 21                        ; attention_bwd.py:103:21 @[ attention_bwd.py:253:40 ]
	ds_load_u16 v113, v159 offset:4096
	ds_load_u16 v119, v98 offset:4096
	s_clause 0x2                            ; 12-byte Folded Reload
	scratch_load_b32 v98, off, off offset:1456
	scratch_load_b32 v118, off, off offset:1220
	;; [unrolled: 1-line block ×3, first 2 shown]
	.loc	1 102 21                        ; attention_bwd.py:102:21 @[ attention_bwd.py:253:40 ]
	ds_load_u16 v205, v96
	ds_load_u16 v193, v159
	.loc	1 103 21                        ; attention_bwd.py:103:21 @[ attention_bwd.py:253:40 ]
	s_waitcnt vmcnt(2)
	ds_load_u16 v122, v98 offset:4096
	ds_load_u16 v125, v96 offset:4096
	scratch_load_b32 v96, off, off offset:1464 ; 4-byte Folded Reload
	.loc	1 102 21                        ; attention_bwd.py:102:21 @[ attention_bwd.py:253:40 ]
	ds_load_u16 v192, v102
	ds_load_u16 v194, v158
	;; [unrolled: 1-line block ×3, first 2 shown]
	.loc	1 103 21                        ; attention_bwd.py:103:21 @[ attention_bwd.py:253:40 ]
	s_waitcnt lgkmcnt(7)
	ds_load_u16_d16_hi v119, v123 offset:4096
	.loc	1 102 21                        ; attention_bwd.py:102:21 @[ attention_bwd.py:253:40 ]
	ds_load_u16 v203, v101
	s_waitcnt vmcnt(0)
	ds_load_u16 v200, v96
	.loc	1 103 21                        ; attention_bwd.py:103:21 @[ attention_bwd.py:253:40 ]
	ds_load_u16 v116, v112 offset:4096
	.loc	1 102 21                        ; attention_bwd.py:102:21 @[ attention_bwd.py:253:40 ]
	ds_load_u16 v202, v98
	s_waitcnt lgkmcnt(7)
	ds_load_u16_d16_hi v192, v100
	.loc	1 103 21                        ; attention_bwd.py:103:21 @[ attention_bwd.py:253:40 ]
	ds_load_u16 v112, v102 offset:4096
	.loc	1 102 21                        ; attention_bwd.py:102:21 @[ attention_bwd.py:253:40 ]
	s_waitcnt lgkmcnt(7)
	ds_load_u16_d16_hi v195, v157
	scratch_load_b32 v102, off, off offset:1196 ; 4-byte Folded Reload
	.loc	1 103 21                        ; attention_bwd.py:103:21 @[ attention_bwd.py:253:40 ]
	s_waitcnt lgkmcnt(4)
	ds_load_u16_d16_hi v116, v120 offset:4096
	ds_load_u16 v114, v158 offset:4096
	s_waitcnt lgkmcnt(3)
	ds_load_u16_d16_hi v112, v100 offset:4096
	s_clause 0x2                            ; 12-byte Folded Reload
	scratch_load_b32 v100, off, off offset:1192
	scratch_load_b32 v98, off, off offset:1080
	;; [unrolled: 1-line block ×3, first 2 shown]
	.loc	1 102 21                        ; attention_bwd.py:102:21 @[ attention_bwd.py:253:40 ]
	ds_load_u16 v204, v99
	s_waitcnt lgkmcnt(0)
	ds_load_u16_d16_hi v204, v133
	.loc	1 103 21                        ; attention_bwd.py:103:21 @[ attention_bwd.py:253:40 ]
	ds_load_u16 v124, v99 offset:4096
	scratch_load_b32 v99, off, off offset:1468 ; 4-byte Folded Reload
	.loc	1 102 21                        ; attention_bwd.py:102:21 @[ attention_bwd.py:253:40 ]
	s_waitcnt vmcnt(3)
	ds_load_u16_d16_hi v194, v100
	ds_load_u16_d16_hi v193, v102
	.loc	1 103 21                        ; attention_bwd.py:103:21 @[ attention_bwd.py:253:40 ]
	ds_load_u16 v117, v117 offset:4096
	ds_load_u16_d16_hi v114, v100 offset:4096
	ds_load_u16_d16_hi v115, v157 offset:4096
	scratch_load_b32 v100, off, off offset:1228 ; 4-byte Folded Reload
	.loc	1 102 21                        ; attention_bwd.py:102:21 @[ attention_bwd.py:253:40 ]
	ds_load_u16 v198, v118
	.loc	1 103 21                        ; attention_bwd.py:103:21 @[ attention_bwd.py:253:40 ]
	ds_load_u16_d16_hi v125, v132 offset:4096
	ds_load_u16_d16_hi v113, v102 offset:4096
	.loc	1 102 21                        ; attention_bwd.py:102:21 @[ attention_bwd.py:253:40 ]
	s_waitcnt lgkmcnt(2)
	ds_load_u16_d16_hi v198, v134
	.loc	1 103 21                        ; attention_bwd.py:103:21 @[ attention_bwd.py:253:40 ]
	ds_load_u16 v118, v118 offset:4096
	.loc	1 102 21                        ; attention_bwd.py:102:21 @[ attention_bwd.py:253:40 ]
	s_waitcnt vmcnt(0)
	ds_load_u16_d16_hi v197, v100
	ds_load_u16_d16_hi v196, v120
	.loc	1 103 21                        ; attention_bwd.py:103:21 @[ attention_bwd.py:253:40 ]
	ds_load_u16 v120, v96 offset:4096
	ds_load_u16_d16_hi v117, v100 offset:4096
	.loc	1 102 21                        ; attention_bwd.py:102:21 @[ attention_bwd.py:253:40 ]
	ds_load_u16_d16_hi v199, v123
	.loc	1 103 21                        ; attention_bwd.py:103:21 @[ attention_bwd.py:253:40 ]
	s_waitcnt lgkmcnt(5)
	ds_load_u16_d16_hi v118, v134 offset:4096
	s_clause 0x1                            ; 8-byte Folded Reload
	scratch_load_b32 v96, off, off offset:1076
	scratch_load_b32 v168, off, off offset:1024
	.loc	1 102 21                        ; attention_bwd.py:102:21 @[ attention_bwd.py:253:40 ]
	s_waitcnt vmcnt(1)
	ds_load_u16_d16_hi v200, v96
	.loc	1 103 21                        ; attention_bwd.py:103:21 @[ attention_bwd.py:253:40 ]
	s_waitcnt lgkmcnt(4)
	ds_load_u16_d16_hi v120, v96 offset:4096
	ds_load_u16_d16_hi v121, v97 offset:4096
	.loc	1 104 23                        ; attention_bwd.py:104:23 @[ attention_bwd.py:253:40 ]
	s_clause 0x4                            ; 68-byte Folded Reload
	scratch_load_b32 v96, off, off offset:1452
	scratch_load_b128 v[169:172], off, off offset:1700
	scratch_load_b128 v[173:176], off, off offset:1716
	;; [unrolled: 1-line block ×4, first 2 shown]
	.loc	1 102 21                        ; attention_bwd.py:102:21 @[ attention_bwd.py:253:40 ]
	ds_load_u16_d16_hi v207, v98
	.loc	1 103 21                        ; attention_bwd.py:103:21 @[ attention_bwd.py:253:40 ]
	ds_load_u16_d16_hi v122, v99 offset:4096
	.loc	1 102 21                        ; attention_bwd.py:102:21 @[ attention_bwd.py:253:40 ]
	ds_load_u16_d16_hi v201, v97
	s_clause 0x1                            ; 32-byte Folded Reload
	scratch_load_b128 v[16:19], off, off offset:1604
	scratch_load_b128 v[20:23], off, off offset:1620
	v_mov_b32_e32 v97, v40
	s_clause 0x1                            ; 32-byte Folded Reload
	scratch_load_b128 v[40:43], off, off offset:1540
	scratch_load_b128 v[44:47], off, off offset:1556
	s_waitcnt vmcnt(8)
	ds_load_u16_d16_hi v203, v96
	.loc	1 103 21                        ; attention_bwd.py:103:21 @[ attention_bwd.py:253:40 ]
	ds_load_u16 v123, v101 offset:4096
	.loc	1 102 21                        ; attention_bwd.py:102:21 @[ attention_bwd.py:253:40 ]
	ds_load_u16_d16_hi v202, v99
	.loc	1 103 21                        ; attention_bwd.py:103:21 @[ attention_bwd.py:253:40 ]
	ds_load_u16 v126, v126 offset:4096
	s_waitcnt lgkmcnt(2)
	ds_load_u16_d16_hi v123, v96 offset:4096
	ds_load_u16_d16_hi v124, v133 offset:4096
	scratch_load_b32 v96, off, off offset:1100 ; 4-byte Folded Reload
	.loc	1 104 23                        ; attention_bwd.py:104:23 @[ attention_bwd.py:253:40 ]
	s_waitcnt vmcnt(7)
	v_wmma_f32_16x16x16_f16 v[136:143], v[192:199], v[169:176], v[208:215]
	s_clause 0x1                            ; 32-byte Folded Reload
	scratch_load_b128 v[99:102], off, off offset:1668
	scratch_load_b128 v[103:106], off, off offset:1684
	.loc	1 102 21                        ; attention_bwd.py:102:21 @[ attention_bwd.py:253:40 ]
	s_waitcnt vmcnt(2)
	ds_load_u16_d16_hi v206, v96
	ds_load_u16_d16_hi v205, v132
	.loc	1 103 21                        ; attention_bwd.py:103:21 @[ attention_bwd.py:253:40 ]
	s_waitcnt lgkmcnt(4)
	ds_load_u16_d16_hi v126, v96 offset:4096
	ds_load_u16_d16_hi v127, v98 offset:4096
	scratch_load_b32 v96, off, off offset:1372 ; 4-byte Folded Reload
	.loc	1 104 23                        ; attention_bwd.py:104:23 @[ attention_bwd.py:253:40 ]
	s_waitcnt vmcnt(1)
	v_wmma_f32_16x16x16_f16 v[144:151], v[192:199], v[99:106], v[208:215]
	s_waitcnt lgkmcnt(2)
	v_wmma_f32_16x16x16_f16 v[136:143], v[200:207], v[152:159], v[136:143]
	s_clause 0x1                            ; 32-byte Folded Reload
	scratch_load_b128 v[152:155], off, off offset:32
	scratch_load_b128 v[156:159], off, off offset:48
	s_waitcnt vmcnt(0)
	v_wmma_f32_16x16x16_f16 v[144:151], v[200:207], v[152:159], v[144:151]
	.loc	1 112 24                        ; attention_bwd.py:112:24 @[ attention_bwd.py:253:40 ]
	v_wmma_f32_16x16x16_f16 v[200:207], v[112:119], v[16:23], v[208:215]
	v_wmma_f32_16x16x16_f16 v[152:159], v[112:119], v[8:15], v[208:215]
	s_clause 0x3                            ; 16-byte Folded Reload
	scratch_load_b32 v116, off, off offset:1392
	scratch_load_b32 v118, off, off offset:1388
	;; [unrolled: 1-line block ×4, first 2 shown]
	s_waitcnt lgkmcnt(0)
	v_wmma_f32_16x16x16_f16 v[200:207], v[120:127], v[40:47], v[200:207]
	v_wmma_f32_16x16x16_f16 v[152:159], v[120:127], v[240:247], v[152:159]
	s_clause 0x9                            ; 40-byte Folded Reload
	scratch_load_b32 v117, off, off offset:1396
	scratch_load_b32 v122, off, off offset:1436
	;; [unrolled: 1-line block ×10, first 2 shown]
	.loc	1 103 21                        ; attention_bwd.py:103:21 @[ attention_bwd.py:253:40 ]
	ds_load_u16 v129, v168 offset:4096
	.loc	1 102 21                        ; attention_bwd.py:102:21 @[ attention_bwd.py:253:40 ]
	ds_load_u16 v192, v131
	.loc	1 103 21                        ; attention_bwd.py:103:21 @[ attention_bwd.py:253:40 ]
	ds_load_u16_d16_hi v128, v96 offset:4096
	.loc	1 102 21                        ; attention_bwd.py:102:21 @[ attention_bwd.py:253:40 ]
	s_waitcnt vmcnt(4)
	ds_load_u16 v194, v125
	ds_load_u16 v193, v168
	;; [unrolled: 1-line block ×7, first 2 shown]
	.loc	1 103 21                        ; attention_bwd.py:103:21 @[ attention_bwd.py:253:40 ]
	ds_load_u16 v131, v116 offset:4096
	ds_load_u16 v132, v118 offset:4096
	;; [unrolled: 1-line block ×4, first 2 shown]
	.loc	1 102 21                        ; attention_bwd.py:102:21 @[ attention_bwd.py:253:40 ]
	s_waitcnt vmcnt(0)
	ds_load_u16 v112, v124
	.loc	1 103 21                        ; attention_bwd.py:103:21 @[ attention_bwd.py:253:40 ]
	ds_load_u16 v133, v115 offset:4096
	.loc	1 102 21                        ; attention_bwd.py:102:21 @[ attention_bwd.py:253:40 ]
	s_waitcnt lgkmcnt(14)
	ds_load_u16_d16_hi v192, v96
	.loc	1 103 21                        ; attention_bwd.py:103:21 @[ attention_bwd.py:253:40 ]
	ds_load_u16 v130, v125 offset:4096
	s_waitcnt lgkmcnt(5)
	ds_load_u16_d16_hi v134, v123 offset:4096
	s_waitcnt lgkmcnt(5)
	ds_load_u16_d16_hi v135, v120 offset:4096
	ds_load_u16_d16_hi v129, v114 offset:4096
	;; [unrolled: 1-line block ×4, first 2 shown]
	s_waitcnt lgkmcnt(5)
	ds_load_u16_d16_hi v130, v113 offset:4096
	.loc	1 102 21                        ; attention_bwd.py:102:21 @[ attention_bwd.py:253:40 ]
	ds_load_u16_d16_hi v194, v113
	ds_load_u16_d16_hi v193, v114
	;; [unrolled: 1-line block ×7, first 2 shown]
	.loc	1 103 21                        ; attention_bwd.py:103:21 @[ attention_bwd.py:253:40 ]
	ds_load_u16 v120, v124 offset:4096
	s_clause 0x2                            ; 12-byte Folded Reload
	scratch_load_b32 v123, off, off offset:1060
	scratch_load_b32 v113, off, off offset:1320
	;; [unrolled: 1-line block ×3, first 2 shown]
	.loc	1 102 21                        ; attention_bwd.py:102:21 @[ attention_bwd.py:253:40 ]
	s_waitcnt vmcnt(1)
	ds_load_u16 v117, v113
	v_mov_b32_e32 v96, v167
	s_clause 0x1                            ; 32-byte Folded Reload
	scratch_load_b128 v[160:163], off, off offset:1732
	scratch_load_b128 v[164:167], off, off offset:1748
	.loc	1 103 21                        ; attention_bwd.py:103:21 @[ attention_bwd.py:253:40 ]
	ds_load_u16_d16_hi v133, v121 offset:4096
	s_clause 0x1                            ; 8-byte Folded Reload
	scratch_load_b32 v122, off, off offset:996
	scratch_load_b32 v121, off, off offset:1056
	s_waitcnt lgkmcnt(2)
	ds_load_u16_d16_hi v120, v123 offset:4096
	.loc	1 104 23                        ; attention_bwd.py:104:23 @[ attention_bwd.py:253:40 ]
	v_wmma_f32_16x16x16_f16 v[136:143], v[192:199], v[184:191], v[136:143]
	.loc	1 112 24                        ; attention_bwd.py:112:24 @[ attention_bwd.py:253:40 ]
	s_waitcnt lgkmcnt(1)
	v_wmma_f32_16x16x16_f16 v[200:207], v[128:135], v[224:231], v[200:207]
	s_waitcnt vmcnt(2)
	v_wmma_f32_16x16x16_f16 v[152:159], v[128:135], v[160:167], v[152:159]
	.loc	1 104 23                        ; attention_bwd.py:104:23 @[ attention_bwd.py:253:40 ]
	s_clause 0x1                            ; 32-byte Folded Reload
	scratch_load_b128 v[124:127], off, off
	scratch_load_b128 v[128:131], off, off offset:16
	s_waitcnt vmcnt(0)
	v_wmma_f32_16x16x16_f16 v[144:151], v[192:199], v[124:131], v[144:151]
	scratch_load_b32 v126, off, off offset:1328 ; 4-byte Folded Reload
	.loc	1 102 21                        ; attention_bwd.py:102:21 @[ attention_bwd.py:253:40 ]
	ds_load_u16 v116, v114
	.loc	1 103 21                        ; attention_bwd.py:103:21 @[ attention_bwd.py:253:40 ]
	ds_load_u16 v124, v114 offset:4096
	ds_load_u16 v125, v113 offset:4096
	s_clause 0x4                            ; 20-byte Folded Reload
	scratch_load_b32 v113, off, off offset:1012
	scratch_load_b32 v129, off, off offset:1000
	;; [unrolled: 1-line block ×5, first 2 shown]
	.loc	1 102 21                        ; attention_bwd.py:102:21 @[ attention_bwd.py:253:40 ]
	s_waitcnt vmcnt(4)
	ds_load_u16 v119, v113
	.loc	1 103 21                        ; attention_bwd.py:103:21 @[ attention_bwd.py:253:40 ]
	ds_load_u16 v127, v113 offset:4096
	.loc	1 102 21                        ; attention_bwd.py:102:21 @[ attention_bwd.py:253:40 ]
	ds_load_u16 v115, v126
	ds_load_u16 v114, v122
	;; [unrolled: 1-line block ×3, first 2 shown]
	.loc	1 103 21                        ; attention_bwd.py:103:21 @[ attention_bwd.py:253:40 ]
	ds_load_u16 v121, v121 offset:4096
	ds_load_u16 v122, v122 offset:4096
	.loc	1 102 21                        ; attention_bwd.py:102:21 @[ attention_bwd.py:253:40 ]
	ds_load_u16_d16_hi v112, v123
	.loc	1 103 21                        ; attention_bwd.py:103:21 @[ attention_bwd.py:253:40 ]
	ds_load_u16 v123, v126 offset:4096
	scratch_load_b32 v126, off, off offset:1004 ; 4-byte Folded Reload
	.loc	1 102 21                        ; attention_bwd.py:102:21 @[ attention_bwd.py:253:40 ]
	s_waitcnt vmcnt(2)
	ds_load_u16 v118, v128
	.loc	1 104 23                        ; attention_bwd.py:104:23 @[ attention_bwd.py:253:40 ]
	s_clause 0x1                            ; 32-byte Folded Reload
	scratch_load_b128 v[192:195], off, off offset:160
	scratch_load_b128 v[196:199], off, off offset:176
	.loc	1 102 21                        ; attention_bwd.py:102:21 @[ attention_bwd.py:253:40 ]
	s_waitcnt lgkmcnt(7)
	ds_load_u16_d16_hi v115, v129
	s_waitcnt vmcnt(2) lgkmcnt(7)
	ds_load_u16_d16_hi v114, v126
	.loc	1 103 21                        ; attention_bwd.py:103:21 @[ attention_bwd.py:253:40 ]
	s_waitcnt lgkmcnt(5)
	ds_load_u16_d16_hi v122, v126 offset:4096
	.loc	1 102 21                        ; attention_bwd.py:102:21 @[ attention_bwd.py:253:40 ]
	ds_load_u16_d16_hi v113, v130
	.loc	1 103 21                        ; attention_bwd.py:103:21 @[ attention_bwd.py:253:40 ]
	ds_load_u16 v126, v128 offset:4096
	s_waitcnt lgkmcnt(6)
	ds_load_u16_d16_hi v123, v129 offset:4096
	s_clause 0x1                            ; 8-byte Folded Reload
	scratch_load_b32 v128, off, off offset:1340
	scratch_load_b32 v129, off, off offset:1336
	ds_load_u16_d16_hi v124, v131 offset:4096
	ds_load_u16_d16_hi v121, v130 offset:4096
	.loc	1 102 21                        ; attention_bwd.py:102:21 @[ attention_bwd.py:253:40 ]
	ds_load_u16_d16_hi v116, v131
	.loc	1 103 21                        ; attention_bwd.py:103:21 @[ attention_bwd.py:253:40 ]
	s_waitcnt vmcnt(0) lgkmcnt(4)
	ds_load_u16_d16_hi v126, v129 offset:4096
	ds_load_u16_d16_hi v125, v128 offset:4096
	.loc	1 102 21                        ; attention_bwd.py:102:21 @[ attention_bwd.py:253:40 ]
	ds_load_u16_d16_hi v118, v129
	ds_load_u16_d16_hi v117, v128
	scratch_load_b32 v128, off, off offset:1316 ; 4-byte Folded Reload
	s_waitcnt vmcnt(0)
	ds_load_u16_d16_hi v119, v128
	.loc	1 103 21                        ; attention_bwd.py:103:21 @[ attention_bwd.py:253:40 ]
	ds_load_u16_d16_hi v127, v128 offset:4096
	.loc	1 104 23                        ; attention_bwd.py:104:23 @[ attention_bwd.py:253:40 ]
	s_waitcnt lgkmcnt(1)
	v_wmma_f32_16x16x16_f16 v[136:143], v[112:119], v[192:199], v[136:143]
	s_clause 0x1                            ; 32-byte Folded Reload
	scratch_load_b128 v[192:195], off, off offset:128
	scratch_load_b128 v[196:199], off, off offset:144
	.loc	1 112 24                        ; attention_bwd.py:112:24 @[ attention_bwd.py:253:40 ]
	s_waitcnt lgkmcnt(0)
	v_wmma_f32_16x16x16_f16 v[152:159], v[120:127], v[216:223], v[152:159]
	.loc	1 104 23                        ; attention_bwd.py:104:23 @[ attention_bwd.py:253:40 ]
	s_waitcnt vmcnt(0)
	v_wmma_f32_16x16x16_f16 v[144:151], v[112:119], v[192:199], v[144:151]
	.loc	1 112 24                        ; attention_bwd.py:112:24 @[ attention_bwd.py:253:40 ]
	s_clause 0x1                            ; 32-byte Folded Reload
	scratch_load_b128 v[112:115], off, off offset:96
	scratch_load_b128 v[116:119], off, off offset:112
	s_waitcnt vmcnt(0)
	v_wmma_f32_16x16x16_f16 v[200:207], v[120:127], v[112:119], v[200:207]
	.loc	1 105 30                        ; attention_bwd.py:105:30 @[ attention_bwd.py:253:40 ]
	v_sub_f32_e32 v112, v136, v238
	v_sub_f32_e32 v113, v137, v238
	;; [unrolled: 1-line block ×3, first 2 shown]
	s_delay_alu instid0(VALU_DEP_4) | instskip(NEXT) | instid1(VALU_DEP_4)
	v_dual_sub_f32 v116, v140, v238 :: v_dual_sub_f32 v121, v201, v236
	.loc	1 105 25 is_stmt 0              ; attention_bwd.py:105:25 @[ attention_bwd.py:253:40 ]
	v_exp_f32_e32 v112, v112
	.loc	1 113 23 is_stmt 1              ; attention_bwd.py:113:23 @[ attention_bwd.py:253:40 ]
	v_dual_sub_f32 v120, v200, v236 :: v_dual_sub_f32 v115, v139, v238
	v_sub_f32_e32 v122, v202, v236
	.loc	1 105 30                        ; attention_bwd.py:105:30 @[ attention_bwd.py:253:40 ]
	v_dual_sub_f32 v118, v142, v238 :: v_dual_sub_f32 v123, v203, v236
	v_dual_sub_f32 v117, v141, v238 :: v_dual_sub_f32 v124, v204, v236
	.loc	1 113 23                        ; attention_bwd.py:113:23 @[ attention_bwd.py:253:40 ]
	v_sub_f32_e32 v125, v205, v236
	.loc	1 105 30                        ; attention_bwd.py:105:30 @[ attention_bwd.py:253:40 ]
	v_dual_sub_f32 v119, v143, v238 :: v_dual_sub_f32 v126, v206, v236
	s_delay_alu instid0(TRANS32_DEP_1)
	.loc	1 114 19                        ; attention_bwd.py:114:19 @[ attention_bwd.py:253:40 ]
	v_fma_mixlo_f16 v120, v112, v120, 0
	.loc	1 105 25                        ; attention_bwd.py:105:25 @[ attention_bwd.py:253:40 ]
	v_exp_f32_e32 v112, v113
	.loc	1 113 23                        ; attention_bwd.py:113:23 @[ attention_bwd.py:253:40 ]
	v_sub_f32_e32 v127, v207, v236
	s_clause 0x1                            ; 8-byte Folded Reload
	scratch_load_b32 v201, off, off offset:1300
	scratch_load_b32 v200, off, off offset:1040
	.loc	1 114 19                        ; attention_bwd.py:114:19 @[ attention_bwd.py:253:40 ]
	v_fma_mixhi_f16 v120, v112, v121, 0
	.loc	1 105 25                        ; attention_bwd.py:105:25 @[ attention_bwd.py:253:40 ]
	v_exp_f32_e32 v112, v114
	s_delay_alu instid0(VALU_DEP_1)
	.loc	1 114 19                        ; attention_bwd.py:114:19 @[ attention_bwd.py:253:40 ]
	v_permlanex16_b32 v113, v120, s12, 0xfedcba98 op_sel:[1,0]
	s_waitcnt_depctr depctr_va_vdst(0)
	v_fma_mixlo_f16 v121, v112, v122, 0
	.loc	1 105 25                        ; attention_bwd.py:105:25 @[ attention_bwd.py:253:40 ]
	v_exp_f32_e32 v112, v115
	.loc	1 114 19                        ; attention_bwd.py:114:19 @[ attention_bwd.py:253:40 ]
	s_waitcnt_depctr depctr_va_vdst(0)
	v_fma_mixhi_f16 v121, v112, v123, 0
	.loc	1 105 25                        ; attention_bwd.py:105:25 @[ attention_bwd.py:253:40 ]
	v_exp_f32_e32 v112, v116
	s_delay_alu instid0(VALU_DEP_1) | instskip(NEXT) | instid1(VALU_DEP_1)
	.loc	1 114 19                        ; attention_bwd.py:114:19 @[ attention_bwd.py:253:40 ]
	v_permlanex16_b32 v115, v121, s12, 0xfedcba98 op_sel:[1,0]
	v_perm_b32 v114, v115, v121, v249
	s_waitcnt_depctr depctr_va_vdst(0)
	v_fma_mixlo_f16 v122, v112, v124, 0
	.loc	1 105 25                        ; attention_bwd.py:105:25 @[ attention_bwd.py:253:40 ]
	v_exp_f32_e32 v112, v117
	.loc	1 114 19                        ; attention_bwd.py:114:19 @[ attention_bwd.py:253:40 ]
	v_perm_b32 v115, v115, v121, v250
	s_waitcnt_depctr depctr_va_vdst(0)
	v_fma_mixhi_f16 v122, v112, v125, 0
	.loc	1 105 25                        ; attention_bwd.py:105:25 @[ attention_bwd.py:253:40 ]
	v_exp_f32_e32 v112, v118
	s_delay_alu instid0(VALU_DEP_1) | instskip(NEXT) | instid1(VALU_DEP_1)
	.loc	1 114 19                        ; attention_bwd.py:114:19 @[ attention_bwd.py:253:40 ]
	v_permlanex16_b32 v117, v122, s12, 0xfedcba98 op_sel:[1,0]
	v_perm_b32 v116, v117, v122, v249
	s_waitcnt_depctr depctr_va_vdst(0)
	v_fma_mixlo_f16 v123, v112, v126, 0
	.loc	1 105 25                        ; attention_bwd.py:105:25 @[ attention_bwd.py:253:40 ]
	v_exp_f32_e32 v112, v119
	.loc	1 114 19                        ; attention_bwd.py:114:19 @[ attention_bwd.py:253:40 ]
	v_perm_b32 v117, v117, v122, v250
	s_waitcnt_depctr depctr_va_vdst(0)
	v_fma_mixhi_f16 v123, v112, v127, 0
	v_perm_b32 v112, v113, v120, v249
	v_perm_b32 v113, v113, v120, v250
	s_delay_alu instid0(VALU_DEP_3) | instskip(NEXT) | instid1(VALU_DEP_1)
	v_permlanex16_b32 v119, v123, s12, 0xfedcba98 op_sel:[1,0]
	v_perm_b32 v118, v119, v123, v249
	v_perm_b32 v119, v119, v123, v250
	.loc	1 117 25                        ; attention_bwd.py:117:25 @[ attention_bwd.py:253:40 ]
	ds_load_b128 v[120:123], v254
	ds_load_b128 v[124:127], v254 offset:16
	ds_load_b128 v[128:131], v254 offset:1024
	;; [unrolled: 1-line block ×7, first 2 shown]
	s_waitcnt lgkmcnt(6)
	v_wmma_f32_16x16x16_f16 v[24:31], v[120:127], v[112:119], v[24:31]
	s_waitcnt lgkmcnt(4)
	v_wmma_f32_16x16x16_f16 v[72:79], v[128:135], v[112:119], v[72:79]
	;; [unrolled: 2-line block ×4, first 2 shown]
	.loc	1 105 30                        ; attention_bwd.py:105:30 @[ attention_bwd.py:253:40 ]
	v_sub_f32_e32 v112, v144, v239
	v_dual_sub_f32 v113, v145, v239 :: v_dual_sub_f32 v144, v152, v237
	v_sub_f32_e32 v114, v146, v239
	v_dual_sub_f32 v116, v148, v239 :: v_dual_sub_f32 v145, v153, v237
	s_delay_alu instid0(VALU_DEP_4)
	.loc	1 105 25 is_stmt 0              ; attention_bwd.py:105:25 @[ attention_bwd.py:253:40 ]
	v_exp_f32_e32 v112, v112
	.loc	1 105 30                        ; attention_bwd.py:105:30 @[ attention_bwd.py:253:40 ]
	v_dual_sub_f32 v115, v147, v239 :: v_dual_sub_f32 v146, v154, v237
	v_dual_sub_f32 v118, v150, v239 :: v_dual_sub_f32 v147, v155, v237
	;; [unrolled: 1-line block ×3, first 2 shown]
	.loc	1 113 23 is_stmt 1              ; attention_bwd.py:113:23 @[ attention_bwd.py:253:40 ]
	v_sub_f32_e32 v149, v157, v237
	.loc	1 105 30                        ; attention_bwd.py:105:30 @[ attention_bwd.py:253:40 ]
	v_dual_sub_f32 v119, v151, v239 :: v_dual_sub_f32 v150, v158, v237
	.loc	1 114 19                        ; attention_bwd.py:114:19 @[ attention_bwd.py:253:40 ]
	s_waitcnt_depctr depctr_va_vdst(0)
	v_fma_mixlo_f16 v144, v112, v144, 0
	.loc	1 105 25                        ; attention_bwd.py:105:25 @[ attention_bwd.py:253:40 ]
	v_exp_f32_e32 v112, v113
	.loc	1 113 23                        ; attention_bwd.py:113:23 @[ attention_bwd.py:253:40 ]
	v_sub_f32_e32 v151, v159, v237
	.loc	1 114 19                        ; attention_bwd.py:114:19 @[ attention_bwd.py:253:40 ]
	s_waitcnt_depctr depctr_va_vdst(0)
	v_fma_mixhi_f16 v144, v112, v145, 0
	.loc	1 105 25                        ; attention_bwd.py:105:25 @[ attention_bwd.py:253:40 ]
	v_exp_f32_e32 v112, v114
	s_delay_alu instid0(VALU_DEP_1)
	.loc	1 114 19                        ; attention_bwd.py:114:19 @[ attention_bwd.py:253:40 ]
	v_permlanex16_b32 v113, v144, s12, 0xfedcba98 op_sel:[1,0]
	s_waitcnt_depctr depctr_va_vdst(0)
	v_fma_mixlo_f16 v145, v112, v146, 0
	.loc	1 105 25                        ; attention_bwd.py:105:25 @[ attention_bwd.py:253:40 ]
	v_exp_f32_e32 v112, v115
	.loc	1 114 19                        ; attention_bwd.py:114:19 @[ attention_bwd.py:253:40 ]
	s_waitcnt_depctr depctr_va_vdst(0)
	v_fma_mixhi_f16 v145, v112, v147, 0
	.loc	1 105 25                        ; attention_bwd.py:105:25 @[ attention_bwd.py:253:40 ]
	v_exp_f32_e32 v112, v116
	s_delay_alu instid0(VALU_DEP_1) | instskip(NEXT) | instid1(VALU_DEP_1)
	.loc	1 114 19                        ; attention_bwd.py:114:19 @[ attention_bwd.py:253:40 ]
	v_permlanex16_b32 v115, v145, s12, 0xfedcba98 op_sel:[1,0]
	v_perm_b32 v114, v115, v145, v249
	s_waitcnt_depctr depctr_va_vdst(0)
	v_fma_mixlo_f16 v146, v112, v148, 0
	.loc	1 105 25                        ; attention_bwd.py:105:25 @[ attention_bwd.py:253:40 ]
	v_exp_f32_e32 v112, v117
	.loc	1 114 19                        ; attention_bwd.py:114:19 @[ attention_bwd.py:253:40 ]
	v_perm_b32 v115, v115, v145, v250
	s_waitcnt_depctr depctr_va_vdst(0)
	v_fma_mixhi_f16 v146, v112, v149, 0
	.loc	1 105 25                        ; attention_bwd.py:105:25 @[ attention_bwd.py:253:40 ]
	v_exp_f32_e32 v112, v118
	s_delay_alu instid0(VALU_DEP_1) | instskip(NEXT) | instid1(VALU_DEP_1)
	.loc	1 114 19                        ; attention_bwd.py:114:19 @[ attention_bwd.py:253:40 ]
	v_permlanex16_b32 v117, v146, s12, 0xfedcba98 op_sel:[1,0]
	v_perm_b32 v116, v117, v146, v249
	s_waitcnt_depctr depctr_va_vdst(0)
	v_fma_mixlo_f16 v147, v112, v150, 0
	.loc	1 105 25                        ; attention_bwd.py:105:25 @[ attention_bwd.py:253:40 ]
	v_exp_f32_e32 v112, v119
	.loc	1 114 19                        ; attention_bwd.py:114:19 @[ attention_bwd.py:253:40 ]
	v_perm_b32 v117, v117, v146, v250
	s_waitcnt_depctr depctr_va_vdst(0)
	v_fma_mixhi_f16 v147, v112, v151, 0
	v_perm_b32 v112, v113, v144, v249
	v_perm_b32 v113, v113, v144, v250
	s_delay_alu instid0(VALU_DEP_3) | instskip(NEXT) | instid1(VALU_DEP_1)
	v_permlanex16_b32 v119, v147, s12, 0xfedcba98 op_sel:[1,0]
	v_perm_b32 v118, v119, v147, v249
	v_perm_b32 v119, v119, v147, v250
	s_delay_alu instid0(VALU_DEP_1)
	.loc	1 117 25                        ; attention_bwd.py:117:25 @[ attention_bwd.py:253:40 ]
	v_wmma_f32_16x16x16_f16 v[48:55], v[120:127], v[112:119], v[48:55]
	v_wmma_f32_16x16x16_f16 v[88:95], v[128:135], v[112:119], v[88:95]
	;; [unrolled: 1-line block ×4, first 2 shown]
	s_clause 0x5                            ; 24-byte Folded Reload
	scratch_load_b32 v115, off, off offset:1124
	scratch_load_b32 v125, off, off offset:1172
	;; [unrolled: 1-line block ×6, first 2 shown]
	.loc	1 103 21                        ; attention_bwd.py:103:21 @[ attention_bwd.py:253:40 ]
	s_waitcnt vmcnt(2)
	ds_load_u16 v121, v124 offset:4096
	s_waitcnt vmcnt(1)
	ds_load_u16 v122, v113 offset:4096
	.loc	1 102 21                        ; attention_bwd.py:102:21 @[ attention_bwd.py:253:40 ]
	ds_load_u16 v112, v115
	ds_load_u16 v117, v128
	;; [unrolled: 1-line block ×3, first 2 shown]
	s_clause 0x2                            ; 12-byte Folded Reload
	scratch_load_b32 v113, off, off offset:1152
	scratch_load_b32 v126, off, off offset:1148
	scratch_load_b32 v129, off, off offset:1132
	ds_load_u16 v119, v125
	.loc	1 103 21                        ; attention_bwd.py:103:21 @[ attention_bwd.py:253:40 ]
	ds_load_u16 v120, v115 offset:4096
	.loc	1 102 21                        ; attention_bwd.py:102:21 @[ attention_bwd.py:253:40 ]
	s_waitcnt vmcnt(2)
	ds_load_u16 v115, v113
	.loc	1 103 21                        ; attention_bwd.py:103:21 @[ attention_bwd.py:253:40 ]
	ds_load_u16 v123, v113 offset:4096
	s_clause 0x1                            ; 8-byte Folded Reload
	scratch_load_b32 v131, off, off offset:1156
	scratch_load_b32 v130, off, off offset:1356
	.loc	1 102 21                        ; attention_bwd.py:102:21 @[ attention_bwd.py:253:40 ]
	s_waitcnt vmcnt(3)
	ds_load_u16 v116, v126
	.loc	1 103 21                        ; attention_bwd.py:103:21 @[ attention_bwd.py:253:40 ]
	ds_load_u16 v127, v125 offset:4096
	.loc	1 102 21                        ; attention_bwd.py:102:21 @[ attention_bwd.py:253:40 ]
	ds_load_u16 v113, v124
	s_clause 0x1                            ; 8-byte Folded Reload
	scratch_load_b32 v125, off, off offset:1136
	scratch_load_b32 v124, off, off offset:1128
	s_waitcnt vmcnt(0) lgkmcnt(7)
	ds_load_u16_d16_hi v114, v124
	.loc	1 103 21                        ; attention_bwd.py:103:21 @[ attention_bwd.py:253:40 ]
	ds_load_u16_d16_hi v122, v124 offset:4096
	ds_load_u16 v124, v126 offset:4096
	s_waitcnt lgkmcnt(8)
	ds_load_u16_d16_hi v120, v125 offset:4096
	scratch_load_b32 v126, off, off offset:1116 ; 4-byte Folded Reload
	.loc	1 102 21                        ; attention_bwd.py:102:21 @[ attention_bwd.py:253:40 ]
	ds_load_u16 v118, v131
	ds_load_u16_d16_hi v112, v125
	.loc	1 103 21                        ; attention_bwd.py:103:21 @[ attention_bwd.py:253:40 ]
	ds_load_u16_d16_hi v121, v129 offset:4096
	s_waitcnt vmcnt(0) lgkmcnt(10)
	ds_load_u16_d16_hi v123, v126 offset:4096
	ds_load_u16 v125, v128 offset:4096
	.loc	1 102 21                        ; attention_bwd.py:102:21 @[ attention_bwd.py:253:40 ]
	s_waitcnt lgkmcnt(9)
	ds_load_u16_d16_hi v113, v129
	scratch_load_b32 v129, off, off offset:1140 ; 4-byte Folded Reload
	ds_load_u16_d16_hi v116, v132
	.loc	1 103 21                        ; attention_bwd.py:103:21 @[ attention_bwd.py:253:40 ]
	ds_load_u16 v128, v130 offset:4096
	.loc	1 102 21                        ; attention_bwd.py:102:21 @[ attention_bwd.py:253:40 ]
	s_waitcnt vmcnt(0)
	ds_load_u16_d16_hi v119, v129
	ds_load_u16_d16_hi v115, v126
	.loc	1 103 21                        ; attention_bwd.py:103:21 @[ attention_bwd.py:253:40 ]
	s_waitcnt lgkmcnt(11)
	ds_load_u16_d16_hi v124, v132 offset:4096
	ds_load_u16 v126, v131 offset:4096
	scratch_load_b32 v131, off, off offset:1164 ; 4-byte Folded Reload
	.loc	1 102 21                        ; attention_bwd.py:102:21 @[ attention_bwd.py:253:40 ]
	s_waitcnt vmcnt(0)
	ds_load_u16_d16_hi v117, v131
	.loc	1 103 21                        ; attention_bwd.py:103:21 @[ attention_bwd.py:253:40 ]
	s_waitcnt lgkmcnt(8)
	ds_load_u16_d16_hi v125, v131 offset:4096
	scratch_load_b32 v131, off, off offset:1160 ; 4-byte Folded Reload
	.loc	1 102 21                        ; attention_bwd.py:102:21 @[ attention_bwd.py:253:40 ]
	s_waitcnt vmcnt(0)
	ds_load_u16_d16_hi v118, v131
	.loc	1 103 21                        ; attention_bwd.py:103:21 @[ attention_bwd.py:253:40 ]
	s_waitcnt lgkmcnt(3)
	ds_load_u16_d16_hi v126, v131 offset:4096
	ds_load_u16_d16_hi v127, v129 offset:4096
	scratch_load_b32 v131, off, off offset:1352 ; 4-byte Folded Reload
	.loc	1 104 23                        ; attention_bwd.py:104:23 @[ attention_bwd.py:253:40 ]
	s_waitcnt lgkmcnt(2)
	v_wmma_f32_16x16x16_f16 v[144:151], v[112:119], v[169:176], v[208:215]
	v_wmma_f32_16x16x16_f16 v[152:159], v[112:119], v[99:106], v[208:215]
	.loc	1 112 24                        ; attention_bwd.py:112:24 @[ attention_bwd.py:253:40 ]
	s_waitcnt lgkmcnt(0)
	v_wmma_f32_16x16x16_f16 v[112:119], v[120:127], v[16:23], v[208:215]
	v_wmma_f32_16x16x16_f16 v[192:199], v[120:127], v[8:15], v[208:215]
	.loc	1 104 23                        ; attention_bwd.py:104:23 @[ attention_bwd.py:253:40 ]
	s_clause 0xf                            ; 112-byte Folded Reload
	scratch_load_b32 v121, off, off offset:1408
	scratch_load_b32 v122, off, off offset:1420
	;; [unrolled: 1-line block ×12, first 2 shown]
	scratch_load_b128 v[98:101], off, off offset:64
	scratch_load_b128 v[102:105], off, off offset:80
	scratch_load_b128 v[168:171], off, off
	scratch_load_b128 v[172:175], off, off offset:16
	v_dual_mov_b32 v21, v37 :: v_dual_mov_b32 v18, v34
	v_dual_mov_b32 v19, v35 :: v_dual_mov_b32 v22, v32
	;; [unrolled: 1-line block ×3, first 2 shown]
	v_mov_b32_e32 v36, v33
	s_clause 0x3                            ; 16-byte Folded Reload
	scratch_load_b32 v203, off, off offset:920
	scratch_load_b32 v17, off, off offset:916
	;; [unrolled: 1-line block ×4, first 2 shown]
	.loc	1 103 21                        ; attention_bwd.py:103:21 @[ attention_bwd.py:253:40 ]
	s_waitcnt vmcnt(20)
	ds_load_u16 v129, v131 offset:4096
	.loc	1 102 21                        ; attention_bwd.py:102:21 @[ attention_bwd.py:253:40 ]
	ds_load_u16 v136, v130
	s_clause 0x1                            ; 8-byte Folded Reload
	scratch_load_b32 v130, off, off offset:1376
	scratch_load_b32 v125, off, off offset:1448
	s_waitcnt vmcnt(20)
	ds_load_u16 v142, v122
	.loc	1 103 21                        ; attention_bwd.py:103:21 @[ attention_bwd.py:253:40 ]
	ds_load_u16 v134, v122 offset:4096
	scratch_load_b32 v122, off, off offset:1416 ; 4-byte Folded Reload
	.loc	1 102 21                        ; attention_bwd.py:102:21 @[ attention_bwd.py:253:40 ]
	s_waitcnt vmcnt(20)
	ds_load_u16 v138, v120
	ds_load_u16 v137, v131
	s_waitcnt vmcnt(2) lgkmcnt(4)
	ds_load_u16_d16_hi v136, v130
	.loc	1 103 21                        ; attention_bwd.py:103:21 @[ attention_bwd.py:253:40 ]
	ds_load_u16_d16_hi v128, v130 offset:4096
	.loc	1 102 21                        ; attention_bwd.py:102:21 @[ attention_bwd.py:253:40 ]
	ds_load_u16 v141, v121
	s_waitcnt vmcnt(1)
	ds_load_u16 v143, v125
	.loc	1 103 21                        ; attention_bwd.py:103:21 @[ attention_bwd.py:253:40 ]
	ds_load_u16 v133, v121 offset:4096
	ds_load_u16 v130, v120 offset:4096
	s_clause 0x1                            ; 8-byte Folded Reload
	scratch_load_b32 v120, off, off offset:1360
	scratch_load_b32 v121, off, off offset:1368
	.loc	1 102 21                        ; attention_bwd.py:102:21 @[ attention_bwd.py:253:40 ]
	ds_load_u16 v140, v123
	s_waitcnt lgkmcnt(4)
	ds_load_u16_d16_hi v141, v124
	.loc	1 103 21                        ; attention_bwd.py:103:21 @[ attention_bwd.py:253:40 ]
	s_waitcnt vmcnt(2)
	ds_load_u16 v131, v122 offset:4096
	.loc	1 102 21                        ; attention_bwd.py:102:21 @[ attention_bwd.py:253:40 ]
	ds_load_u16 v139, v122
	scratch_load_b32 v122, off, off offset:1424 ; 4-byte Folded Reload
	s_waitcnt vmcnt(1)
	ds_load_u16_d16_hi v137, v121
	.loc	1 103 21                        ; attention_bwd.py:103:21 @[ attention_bwd.py:253:40 ]
	ds_load_u16 v132, v123 offset:4096
	ds_load_u16_d16_hi v129, v121 offset:4096
	s_waitcnt lgkmcnt(7)
	ds_load_u16_d16_hi v130, v120 offset:4096
	.loc	1 102 21                        ; attention_bwd.py:102:21 @[ attention_bwd.py:253:40 ]
	ds_load_u16_d16_hi v138, v120
	scratch_load_b32 v120, off, off offset:1440 ; 4-byte Folded Reload
	s_waitcnt vmcnt(0) lgkmcnt(8)
	ds_load_u16_d16_hi v140, v120
	s_waitcnt lgkmcnt(6)
	ds_load_u16_d16_hi v139, v215
	.loc	1 103 21                        ; attention_bwd.py:103:21 @[ attention_bwd.py:253:40 ]
	ds_load_u16 v135, v125 offset:4096
	s_waitcnt lgkmcnt(6)
	ds_load_u16_d16_hi v132, v120 offset:4096
	ds_load_u16_d16_hi v133, v124 offset:4096
	scratch_load_b32 v120, off, off offset:1400 ; 4-byte Folded Reload
	ds_load_u16_d16_hi v134, v122 offset:4096
	ds_load_u16_d16_hi v131, v215 offset:4096
	.loc	1 102 21                        ; attention_bwd.py:102:21 @[ attention_bwd.py:253:40 ]
	s_waitcnt vmcnt(0)
	ds_load_u16_d16_hi v143, v120
	ds_load_u16_d16_hi v142, v122
	.loc	1 103 21                        ; attention_bwd.py:103:21 @[ attention_bwd.py:253:40 ]
	s_waitcnt lgkmcnt(6)
	ds_load_u16_d16_hi v135, v120 offset:4096
	.loc	1 104 23                        ; attention_bwd.py:104:23 @[ attention_bwd.py:253:40 ]
	s_waitcnt lgkmcnt(1)
	v_wmma_f32_16x16x16_f16 v[144:151], v[136:143], v[98:105], v[144:151]
	s_clause 0x1                            ; 32-byte Folded Reload
	scratch_load_b128 v[98:101], off, off offset:32
	scratch_load_b128 v[102:105], off, off offset:48
	.loc	1 112 24                        ; attention_bwd.py:112:24 @[ attention_bwd.py:253:40 ]
	s_waitcnt lgkmcnt(0)
	v_wmma_f32_16x16x16_f16 v[112:119], v[128:135], v[40:47], v[112:119]
	v_wmma_f32_16x16x16_f16 v[192:199], v[128:135], v[240:247], v[192:199]
	s_clause 0x6                            ; 28-byte Folded Reload
	scratch_load_b32 v131, off, off offset:1276
	scratch_load_b32 v134, off, off offset:1296
	;; [unrolled: 1-line block ×7, first 2 shown]
	.loc	1 103 21                        ; attention_bwd.py:103:21 @[ attention_bwd.py:253:40 ]
	ds_load_u16 v120, v200 offset:4096
	v_mov_b32_e32 v42, v107
	scratch_load_b32 v107, off, off offset:884 ; 4-byte Folded Reload
	v_mov_b32_e32 v40, v97
	v_mov_b32_e32 v44, v108
	s_clause 0x1                            ; 8-byte Folded Reload
	scratch_load_b32 v34, off, off offset:896
	scratch_load_b32 v108, off, off offset:888
	.loc	1 104 23                        ; attention_bwd.py:104:23 @[ attention_bwd.py:253:40 ]
	s_waitcnt vmcnt(10)
	v_wmma_f32_16x16x16_f16 v[152:159], v[136:143], v[98:105], v[152:159]
	s_clause 0x1                            ; 8-byte Folded Reload
	scratch_load_b32 v136, off, off offset:1280
	scratch_load_b32 v137, off, off offset:1288
	.loc	1 103 21                        ; attention_bwd.py:103:21 @[ attention_bwd.py:253:40 ]
	s_waitcnt vmcnt(11)
	ds_load_u16 v124, v131 offset:4096
	s_waitcnt vmcnt(10)
	ds_load_u16 v127, v134 offset:4096
	s_clause 0x7                            ; 32-byte Folded Reload
	scratch_load_b32 v99, off, off offset:568
	scratch_load_b32 v100, off, off offset:600
	;; [unrolled: 1-line block ×8, first 2 shown]
	s_waitcnt vmcnt(9)
	ds_load_u16 v123, v136 offset:4096
	ds_load_u16 v121, v129 offset:4096
	;; [unrolled: 1-line block ×3, first 2 shown]
	s_waitcnt lgkmcnt(4)
	ds_load_u16_d16_hi v124, v214 offset:4096
	ds_load_u16 v122, v209 offset:4096
	s_waitcnt vmcnt(8) lgkmcnt(3)
	ds_load_u16_d16_hi v121, v137 offset:4096
	ds_load_u16 v125, v212 offset:4096
	s_waitcnt lgkmcnt(2)
	ds_load_u16_d16_hi v122, v211 offset:4096
	ds_load_u16_d16_hi v123, v210 offset:4096
	s_waitcnt lgkmcnt(2)
	ds_load_u16_d16_hi v125, v135 offset:4096
	.loc	1 102 21                        ; attention_bwd.py:102:21 @[ attention_bwd.py:253:40 ]
	ds_load_u16 v128, v130
	.loc	1 103 21                        ; attention_bwd.py:103:21 @[ attention_bwd.py:253:40 ]
	ds_load_u16_d16_hi v120, v201 offset:4096
	ds_load_u16_d16_hi v126, v132 offset:4096
	ds_load_u16_d16_hi v127, v213 offset:4096
	.loc	1 112 24                        ; attention_bwd.py:112:24 @[ attention_bwd.py:253:40 ]
	s_waitcnt lgkmcnt(0)
	v_wmma_f32_16x16x16_f16 v[112:119], v[120:127], v[224:231], v[112:119]
	v_wmma_f32_16x16x16_f16 v[192:199], v[120:127], v[160:167], v[192:199]
	.loc	1 102 21                        ; attention_bwd.py:102:21 @[ attention_bwd.py:253:40 ]
	ds_load_u16 v120, v200
	ds_load_u16 v126, v133
	;; [unrolled: 1-line block ×8, first 2 shown]
	s_waitcnt lgkmcnt(7)
	ds_load_u16_d16_hi v120, v201
	s_waitcnt lgkmcnt(7)
	ds_load_u16_d16_hi v126, v132
	;; [unrolled: 2-line block ×7, first 2 shown]
	.loc	1 103 21                        ; attention_bwd.py:103:21 @[ attention_bwd.py:253:40 ]
	ds_load_u16 v136, v130 offset:4096
	.loc	1 102 21                        ; attention_bwd.py:102:21 @[ attention_bwd.py:253:40 ]
	s_waitcnt lgkmcnt(8)
	ds_load_u16_d16_hi v127, v213
	scratch_load_b32 v137, off, off offset:1260 ; 4-byte Folded Reload
	v_mov_b32_e32 v165, v110
	s_clause 0x5                            ; 24-byte Folded Reload
	scratch_load_b32 v35, off, off offset:864
	scratch_load_b32 v110, off, off offset:760
	;; [unrolled: 1-line block ×6, first 2 shown]
	v_mov_b32_e32 v167, v96
	.loc	1 104 23                        ; attention_bwd.py:104:23 @[ attention_bwd.py:253:40 ]
	s_waitcnt lgkmcnt(0)
	v_wmma_f32_16x16x16_f16 v[144:151], v[120:127], v[184:191], v[144:151]
	v_wmma_f32_16x16x16_f16 v[152:159], v[120:127], v[168:175], v[152:159]
	s_clause 0x5                            ; 24-byte Folded Reload
	scratch_load_b32 v122, off, off offset:1252
	scratch_load_b32 v125, off, off offset:1272
	;; [unrolled: 1-line block ×6, first 2 shown]
	.loc	1 103 21                        ; attention_bwd.py:103:21 @[ attention_bwd.py:253:40 ]
	s_waitcnt vmcnt(12)
	ds_load_u16_d16_hi v136, v137 offset:4096
	s_waitcnt vmcnt(5)
	ds_load_u16 v139, v122 offset:4096
	.loc	1 102 21                        ; attention_bwd.py:102:21 @[ attention_bwd.py:253:40 ]
	s_waitcnt vmcnt(4)
	ds_load_u16 v132, v125
	s_waitcnt vmcnt(2)
	ds_load_u16 v130, v120
	.loc	1 103 21                        ; attention_bwd.py:103:21 @[ attention_bwd.py:253:40 ]
	ds_load_u16 v138, v120 offset:4096
	.loc	1 102 21                        ; attention_bwd.py:102:21 @[ attention_bwd.py:253:40 ]
	ds_load_u16 v131, v122
	scratch_load_b32 v120, off, off offset:1248 ; 4-byte Folded Reload
	s_waitcnt vmcnt(0)
	ds_load_u16 v135, v120
	.loc	1 103 21                        ; attention_bwd.py:103:21 @[ attention_bwd.py:253:40 ]
	ds_load_u16 v143, v120 offset:4096
	s_clause 0x2                            ; 12-byte Folded Reload
	scratch_load_b32 v120, off, off offset:964
	scratch_load_b32 v33, off, off offset:860
	;; [unrolled: 1-line block ×3, first 2 shown]
	.loc	1 102 21                        ; attention_bwd.py:102:21 @[ attention_bwd.py:253:40 ]
	ds_load_u16 v129, v121
	scratch_load_b32 v122, off, off offset:1268 ; 4-byte Folded Reload
	s_waitcnt lgkmcnt(6)
	ds_load_u16_d16_hi v132, v124
	.loc	1 103 21                        ; attention_bwd.py:103:21 @[ attention_bwd.py:253:40 ]
	ds_load_u16 v140, v125 offset:4096
	.loc	1 102 21                        ; attention_bwd.py:102:21 @[ attention_bwd.py:253:40 ]
	ds_load_u16_d16_hi v128, v137
	.loc	1 103 21                        ; attention_bwd.py:103:21 @[ attention_bwd.py:253:40 ]
	ds_load_u16 v137, v121 offset:4096
	scratch_load_b32 v121, off, off offset:1244 ; 4-byte Folded Reload
	.loc	1 102 21                        ; attention_bwd.py:102:21 @[ attention_bwd.py:253:40 ]
	ds_load_u16 v134, v123
	s_waitcnt vmcnt(0) lgkmcnt(5)
	ds_load_u16_d16_hi v129, v121
	.loc	1 103 21                        ; attention_bwd.py:103:21 @[ attention_bwd.py:253:40 ]
	ds_load_u16 v142, v123 offset:4096
	scratch_load_b32 v123, off, off offset:988 ; 4-byte Folded Reload
	.loc	1 102 21                        ; attention_bwd.py:102:21 @[ attention_bwd.py:253:40 ]
	ds_load_u16 v133, v122
	.loc	1 103 21                        ; attention_bwd.py:103:21 @[ attention_bwd.py:253:40 ]
	ds_load_u16_d16_hi v139, v120 offset:4096
	ds_load_u16 v141, v122 offset:4096
	scratch_load_b32 v122, off, off offset:972 ; 4-byte Folded Reload
	.loc	1 102 21                        ; attention_bwd.py:102:21 @[ attention_bwd.py:253:40 ]
	s_waitcnt vmcnt(0) lgkmcnt(5)
	ds_load_u16_d16_hi v134, v122
	.loc	1 103 21                        ; attention_bwd.py:103:21 @[ attention_bwd.py:253:40 ]
	ds_load_u16_d16_hi v137, v121 offset:4096
	scratch_load_b32 v121, off, off offset:976 ; 4-byte Folded Reload
	s_waitcnt lgkmcnt(2)
	ds_load_u16_d16_hi v141, v123 offset:4096
	.loc	1 102 21                        ; attention_bwd.py:102:21 @[ attention_bwd.py:253:40 ]
	s_waitcnt vmcnt(0)
	ds_load_u16_d16_hi v130, v121
	.loc	1 103 21                        ; attention_bwd.py:103:21 @[ attention_bwd.py:253:40 ]
	ds_load_u16_d16_hi v138, v121 offset:4096
	.loc	1 102 21                        ; attention_bwd.py:102:21 @[ attention_bwd.py:253:40 ]
	ds_load_u16_d16_hi v131, v120
	.loc	1 103 21                        ; attention_bwd.py:103:21 @[ attention_bwd.py:253:40 ]
	ds_load_u16_d16_hi v140, v124 offset:4096
	.loc	1 102 21                        ; attention_bwd.py:102:21 @[ attention_bwd.py:253:40 ]
	ds_load_u16_d16_hi v133, v123
	.loc	1 103 21                        ; attention_bwd.py:103:21 @[ attention_bwd.py:253:40 ]
	ds_load_u16_d16_hi v142, v122 offset:4096
	scratch_load_b32 v120, off, off offset:1240 ; 4-byte Folded Reload
	.loc	1 102 21                        ; attention_bwd.py:102:21 @[ attention_bwd.py:253:40 ]
	s_waitcnt vmcnt(0)
	ds_load_u16_d16_hi v135, v120
	.loc	1 103 21                        ; attention_bwd.py:103:21 @[ attention_bwd.py:253:40 ]
	ds_load_u16_d16_hi v143, v120 offset:4096
	.loc	1 104 23                        ; attention_bwd.py:104:23 @[ attention_bwd.py:253:40 ]
	s_clause 0x1                            ; 32-byte Folded Reload
	scratch_load_b128 v[120:123], off, off offset:160
	scratch_load_b128 v[124:127], off, off offset:176
	.loc	1 112 24                        ; attention_bwd.py:112:24 @[ attention_bwd.py:253:40 ]
	s_waitcnt lgkmcnt(0)
	v_wmma_f32_16x16x16_f16 v[192:199], v[136:143], v[216:223], v[192:199]
	.loc	1 104 23                        ; attention_bwd.py:104:23 @[ attention_bwd.py:253:40 ]
	s_waitcnt vmcnt(0)
	v_wmma_f32_16x16x16_f16 v[144:151], v[128:135], v[120:127], v[144:151]
	s_clause 0x1                            ; 32-byte Folded Reload
	scratch_load_b128 v[120:123], off, off offset:128
	scratch_load_b128 v[124:127], off, off offset:144
	v_mov_b32_e32 v162, v111
	v_mov_b32_e32 v164, v109
	s_clause 0x2                            ; 12-byte Folded Reload
	scratch_load_b32 v37, off, off offset:868
	scratch_load_b32 v109, off, off offset:824
	;; [unrolled: 1-line block ×3, first 2 shown]
	s_waitcnt vmcnt(3)
	v_wmma_f32_16x16x16_f16 v[152:159], v[128:135], v[120:127], v[152:159]
	.loc	1 112 24                        ; attention_bwd.py:112:24 @[ attention_bwd.py:253:40 ]
	s_clause 0x1                            ; 32-byte Folded Reload
	scratch_load_b128 v[120:123], off, off offset:96
	scratch_load_b128 v[124:127], off, off offset:112
	s_waitcnt vmcnt(0)
	v_wmma_f32_16x16x16_f16 v[112:119], v[136:143], v[120:127], v[112:119]
	.loc	1 105 30                        ; attention_bwd.py:105:30 @[ attention_bwd.py:253:40 ]
	v_sub_f32_e32 v120, v144, v238
	v_sub_f32_e32 v121, v145, v238
	;; [unrolled: 1-line block ×3, first 2 shown]
	s_delay_alu instid0(VALU_DEP_4)
	v_dual_sub_f32 v122, v146, v238 :: v_dual_sub_f32 v115, v115, v236
	.loc	1 113 23                        ; attention_bwd.py:113:23 @[ attention_bwd.py:253:40 ]
	v_sub_f32_e32 v113, v113, v236
	.loc	1 105 25                        ; attention_bwd.py:105:25 @[ attention_bwd.py:253:40 ]
	v_exp_f32_e32 v120, v120
	.loc	1 113 23                        ; attention_bwd.py:113:23 @[ attention_bwd.py:253:40 ]
	v_dual_sub_f32 v112, v112, v236 :: v_dual_sub_f32 v123, v147, v238
	.loc	1 105 30                        ; attention_bwd.py:105:30 @[ attention_bwd.py:253:40 ]
	v_dual_sub_f32 v127, v151, v238 :: v_dual_sub_f32 v114, v114, v236
	v_dual_sub_f32 v124, v148, v238 :: v_dual_sub_f32 v117, v117, v236
	.loc	1 113 23                        ; attention_bwd.py:113:23 @[ attention_bwd.py:253:40 ]
	v_sub_f32_e32 v116, v116, v236
	.loc	1 105 30                        ; attention_bwd.py:105:30 @[ attention_bwd.py:253:40 ]
	v_dual_sub_f32 v126, v150, v238 :: v_dual_sub_f32 v119, v119, v236
	.loc	1 114 19                        ; attention_bwd.py:114:19 @[ attention_bwd.py:253:40 ]
	s_waitcnt_depctr depctr_va_vdst(0)
	v_fma_mixlo_f16 v120, v120, v112, 0
	.loc	1 105 25                        ; attention_bwd.py:105:25 @[ attention_bwd.py:253:40 ]
	v_exp_f32_e32 v112, v121
	.loc	1 113 23                        ; attention_bwd.py:113:23 @[ attention_bwd.py:253:40 ]
	v_sub_f32_e32 v118, v118, v236
	.loc	1 114 19                        ; attention_bwd.py:114:19 @[ attention_bwd.py:253:40 ]
	s_waitcnt_depctr depctr_va_vdst(0)
	v_fma_mixhi_f16 v120, v112, v113, 0
	.loc	1 105 25                        ; attention_bwd.py:105:25 @[ attention_bwd.py:253:40 ]
	v_exp_f32_e32 v112, v122
	s_delay_alu instid0(VALU_DEP_1)
	.loc	1 114 19                        ; attention_bwd.py:114:19 @[ attention_bwd.py:253:40 ]
	v_permlanex16_b32 v113, v120, s12, 0xfedcba98 op_sel:[1,0]
	s_waitcnt_depctr depctr_va_vdst(0)
	v_fma_mixlo_f16 v121, v112, v114, 0
	.loc	1 105 25                        ; attention_bwd.py:105:25 @[ attention_bwd.py:253:40 ]
	v_exp_f32_e32 v112, v123
	.loc	1 114 19                        ; attention_bwd.py:114:19 @[ attention_bwd.py:253:40 ]
	s_waitcnt_depctr depctr_va_vdst(0)
	v_fma_mixhi_f16 v121, v112, v115, 0
	.loc	1 105 25                        ; attention_bwd.py:105:25 @[ attention_bwd.py:253:40 ]
	v_exp_f32_e32 v112, v124
	s_delay_alu instid0(VALU_DEP_1) | instskip(NEXT) | instid1(VALU_DEP_1)
	.loc	1 114 19                        ; attention_bwd.py:114:19 @[ attention_bwd.py:253:40 ]
	v_permlanex16_b32 v115, v121, s12, 0xfedcba98 op_sel:[1,0]
	v_perm_b32 v114, v115, v121, v249
	s_waitcnt_depctr depctr_va_vdst(0)
	v_fma_mixlo_f16 v122, v112, v116, 0
	.loc	1 105 25                        ; attention_bwd.py:105:25 @[ attention_bwd.py:253:40 ]
	v_exp_f32_e32 v112, v125
	.loc	1 114 19                        ; attention_bwd.py:114:19 @[ attention_bwd.py:253:40 ]
	v_perm_b32 v115, v115, v121, v250
	s_waitcnt_depctr depctr_va_vdst(0)
	v_fma_mixhi_f16 v122, v112, v117, 0
	.loc	1 105 25                        ; attention_bwd.py:105:25 @[ attention_bwd.py:253:40 ]
	v_exp_f32_e32 v112, v126
	s_delay_alu instid0(VALU_DEP_1) | instskip(NEXT) | instid1(VALU_DEP_1)
	.loc	1 114 19                        ; attention_bwd.py:114:19 @[ attention_bwd.py:253:40 ]
	v_permlanex16_b32 v117, v122, s12, 0xfedcba98 op_sel:[1,0]
	v_perm_b32 v116, v117, v122, v249
	s_waitcnt_depctr depctr_va_vdst(0)
	v_fma_mixlo_f16 v123, v112, v118, 0
	.loc	1 105 25                        ; attention_bwd.py:105:25 @[ attention_bwd.py:253:40 ]
	v_exp_f32_e32 v112, v127
	.loc	1 114 19                        ; attention_bwd.py:114:19 @[ attention_bwd.py:253:40 ]
	v_perm_b32 v117, v117, v122, v250
	s_waitcnt_depctr depctr_va_vdst(0)
	v_fma_mixhi_f16 v123, v112, v119, 0
	v_perm_b32 v112, v113, v120, v249
	v_perm_b32 v113, v113, v120, v250
	s_delay_alu instid0(VALU_DEP_3) | instskip(NEXT) | instid1(VALU_DEP_1)
	v_permlanex16_b32 v119, v123, s12, 0xfedcba98 op_sel:[1,0]
	v_perm_b32 v118, v119, v123, v249
	v_perm_b32 v119, v119, v123, v250
	.loc	1 117 25                        ; attention_bwd.py:117:25 @[ attention_bwd.py:253:40 ]
	ds_load_b128 v[120:123], v254 offset:32
	ds_load_b128 v[124:127], v254 offset:48
	;; [unrolled: 1-line block ×8, first 2 shown]
	s_waitcnt lgkmcnt(6)
	v_wmma_f32_16x16x16_f16 v[24:31], v[120:127], v[112:119], v[24:31]
	s_waitcnt lgkmcnt(4)
	v_wmma_f32_16x16x16_f16 v[72:79], v[128:135], v[112:119], v[72:79]
	s_waitcnt lgkmcnt(2)
	v_wmma_f32_16x16x16_f16 v[64:71], v[136:143], v[112:119], v[64:71]
	s_waitcnt lgkmcnt(0)
	v_wmma_f32_16x16x16_f16 v[56:63], v[144:151], v[112:119], v[56:63]
	.loc	1 105 30                        ; attention_bwd.py:105:30 @[ attention_bwd.py:253:40 ]
	v_sub_f32_e32 v112, v152, v239
	v_sub_f32_e32 v113, v153, v239
	.loc	1 113 23                        ; attention_bwd.py:113:23 @[ attention_bwd.py:253:40 ]
	v_sub_f32_e32 v153, v193, v237
	.loc	1 105 30                        ; attention_bwd.py:105:30 @[ attention_bwd.py:253:40 ]
	v_dual_sub_f32 v117, v157, v239 :: v_dual_sub_f32 v152, v192, v237
	s_delay_alu instid0(VALU_DEP_4)
	.loc	1 105 25 is_stmt 0              ; attention_bwd.py:105:25 @[ attention_bwd.py:253:40 ]
	v_exp_f32_e32 v112, v112
	.loc	1 105 30                        ; attention_bwd.py:105:30 @[ attention_bwd.py:253:40 ]
	v_sub_f32_e32 v114, v154, v239
	v_sub_f32_e32 v115, v155, v239
	.loc	1 113 23 is_stmt 1              ; attention_bwd.py:113:23 @[ attention_bwd.py:253:40 ]
	v_sub_f32_e32 v155, v195, v237
	.loc	1 105 30                        ; attention_bwd.py:105:30 @[ attention_bwd.py:253:40 ]
	v_dual_sub_f32 v119, v159, v239 :: v_dual_sub_f32 v154, v194, v237
	v_dual_sub_f32 v116, v156, v239 :: v_dual_sub_f32 v157, v197, v237
	.loc	1 113 23                        ; attention_bwd.py:113:23 @[ attention_bwd.py:253:40 ]
	v_sub_f32_e32 v156, v196, v237
	.loc	1 105 30                        ; attention_bwd.py:105:30 @[ attention_bwd.py:253:40 ]
	v_dual_sub_f32 v118, v158, v239 :: v_dual_sub_f32 v159, v199, v237
	s_delay_alu instid0(TRANS32_DEP_1)
	.loc	1 114 19                        ; attention_bwd.py:114:19 @[ attention_bwd.py:253:40 ]
	v_fma_mixlo_f16 v152, v112, v152, 0
	.loc	1 105 25                        ; attention_bwd.py:105:25 @[ attention_bwd.py:253:40 ]
	v_exp_f32_e32 v112, v113
	.loc	1 113 23                        ; attention_bwd.py:113:23 @[ attention_bwd.py:253:40 ]
	v_sub_f32_e32 v158, v198, v237
	.loc	1 114 19                        ; attention_bwd.py:114:19 @[ attention_bwd.py:253:40 ]
	s_waitcnt_depctr depctr_va_vdst(0)
	v_fma_mixhi_f16 v152, v112, v153, 0
	.loc	1 105 25                        ; attention_bwd.py:105:25 @[ attention_bwd.py:253:40 ]
	v_exp_f32_e32 v112, v114
	s_delay_alu instid0(VALU_DEP_1)
	.loc	1 114 19                        ; attention_bwd.py:114:19 @[ attention_bwd.py:253:40 ]
	v_permlanex16_b32 v113, v152, s12, 0xfedcba98 op_sel:[1,0]
	s_waitcnt_depctr depctr_va_vdst(0)
	v_fma_mixlo_f16 v153, v112, v154, 0
	.loc	1 105 25                        ; attention_bwd.py:105:25 @[ attention_bwd.py:253:40 ]
	v_exp_f32_e32 v112, v115
	.loc	1 114 19                        ; attention_bwd.py:114:19 @[ attention_bwd.py:253:40 ]
	s_waitcnt_depctr depctr_va_vdst(0)
	v_fma_mixhi_f16 v153, v112, v155, 0
	.loc	1 105 25                        ; attention_bwd.py:105:25 @[ attention_bwd.py:253:40 ]
	v_exp_f32_e32 v112, v116
	s_delay_alu instid0(VALU_DEP_1) | instskip(NEXT) | instid1(VALU_DEP_1)
	.loc	1 114 19                        ; attention_bwd.py:114:19 @[ attention_bwd.py:253:40 ]
	v_permlanex16_b32 v115, v153, s12, 0xfedcba98 op_sel:[1,0]
	v_perm_b32 v114, v115, v153, v249
	s_waitcnt_depctr depctr_va_vdst(0)
	v_fma_mixlo_f16 v154, v112, v156, 0
	.loc	1 105 25                        ; attention_bwd.py:105:25 @[ attention_bwd.py:253:40 ]
	v_exp_f32_e32 v112, v117
	.loc	1 114 19                        ; attention_bwd.py:114:19 @[ attention_bwd.py:253:40 ]
	v_perm_b32 v115, v115, v153, v250
	s_waitcnt_depctr depctr_va_vdst(0)
	v_fma_mixhi_f16 v154, v112, v157, 0
	.loc	1 105 25                        ; attention_bwd.py:105:25 @[ attention_bwd.py:253:40 ]
	v_exp_f32_e32 v112, v118
	scratch_load_b32 v157, off, off offset:1176 ; 4-byte Folded Reload
	.loc	1 114 19                        ; attention_bwd.py:114:19 @[ attention_bwd.py:253:40 ]
	v_permlanex16_b32 v117, v154, s12, 0xfedcba98 op_sel:[1,0]
	s_delay_alu instid0(VALU_DEP_1)
	v_perm_b32 v116, v117, v154, v249
	v_fma_mixlo_f16 v155, v112, v158, 0
	.loc	1 105 25                        ; attention_bwd.py:105:25 @[ attention_bwd.py:253:40 ]
	v_exp_f32_e32 v112, v119
	.loc	1 114 19                        ; attention_bwd.py:114:19 @[ attention_bwd.py:253:40 ]
	v_perm_b32 v117, v117, v154, v250
	scratch_load_b32 v158, off, off offset:1180 ; 4-byte Folded Reload
	v_fma_mixhi_f16 v155, v112, v159, 0
	v_perm_b32 v112, v113, v152, v249
	v_perm_b32 v113, v113, v152, v250
	scratch_load_b32 v159, off, off offset:1184 ; 4-byte Folded Reload
	v_permlanex16_b32 v119, v155, s12, 0xfedcba98 op_sel:[1,0]
	s_delay_alu instid0(VALU_DEP_1) | instskip(SKIP_1) | instid1(VALU_DEP_1)
	v_perm_b32 v118, v119, v155, v249
	v_perm_b32 v119, v119, v155, v250
	.loc	1 117 25                        ; attention_bwd.py:117:25 @[ attention_bwd.py:253:40 ]
	v_wmma_f32_16x16x16_f16 v[88:95], v[128:135], v[112:119], v[88:95]
	s_clause 0x4                            ; 20-byte Folded Reload
	scratch_load_b32 v39, off, off offset:872
	scratch_load_b32 v104, off, off offset:280
	;; [unrolled: 1-line block ×5, first 2 shown]
	v_wmma_f32_16x16x16_f16 v[0:7], v[144:151], v[112:119], v[0:7]
	s_clause 0x4                            ; 20-byte Folded Reload
	scratch_load_b32 v43, off, off offset:408
	scratch_load_b32 v41, off, off offset:376
	;; [unrolled: 1-line block ×5, first 2 shown]
	v_wmma_f32_16x16x16_f16 v[48:55], v[120:127], v[112:119], v[48:55]
	v_wmma_f32_16x16x16_f16 v[80:87], v[136:143], v[112:119], v[80:87]
	.loc	1 121 19                        ; attention_bwd.py:121:19 @[ attention_bwd.py:253:40 ]
	v_add_co_u32 v112, vcc_lo, v99, s52
	s_delay_alu instid0(VALU_DEP_1) | instskip(SKIP_2) | instid1(VALU_DEP_1)
	v_add_co_ci_u32_e64 v113, null, s53, v100, vcc_lo
	.loc	1 103 21                        ; attention_bwd.py:103:21 @[ attention_bwd.py:253:40 ]
	global_load_u16 v114, v[112:113], off
	.loc	1 121 19                        ; attention_bwd.py:121:19 @[ attention_bwd.py:253:40 ]
	v_add_co_u32 v112, vcc_lo, v97, s52
	v_add_co_ci_u32_e64 v113, null, s53, v98, vcc_lo
	.loc	1 103 21                        ; attention_bwd.py:103:21 @[ attention_bwd.py:253:40 ]
	global_load_u16 v115, v[112:113], off
	.loc	1 121 19                        ; attention_bwd.py:121:19 @[ attention_bwd.py:253:40 ]
	v_add_co_u32 v112, vcc_lo, v105, s52
	s_delay_alu instid0(VALU_DEP_1)
	v_add_co_ci_u32_e64 v113, null, s53, v106, vcc_lo
	.loc	1 103 21                        ; attention_bwd.py:103:21 @[ attention_bwd.py:253:40 ]
	global_load_u16 v116, v[112:113], off
	.loc	1 121 19                        ; attention_bwd.py:121:19 @[ attention_bwd.py:253:40 ]
	v_add_co_u32 v112, vcc_lo, v103, s52
	s_waitcnt vmcnt(11)
	v_add_co_ci_u32_e64 v113, null, s53, v104, vcc_lo
	.loc	1 103 21                        ; attention_bwd.py:103:21 @[ attention_bwd.py:253:40 ]
	global_load_u16 v117, v[112:113], off
	.loc	1 121 19                        ; attention_bwd.py:121:19 @[ attention_bwd.py:253:40 ]
	v_add_co_u32 v112, vcc_lo, v44, s52
	s_delay_alu instid0(VALU_DEP_1) | instskip(SKIP_2) | instid1(VALU_DEP_1)
	v_add_co_ci_u32_e64 v113, null, s53, v202, vcc_lo
	.loc	1 103 21                        ; attention_bwd.py:103:21 @[ attention_bwd.py:253:40 ]
	global_load_u16 v118, v[112:113], off
	.loc	1 121 19                        ; attention_bwd.py:121:19 @[ attention_bwd.py:253:40 ]
	v_add_co_u32 v112, vcc_lo, v40, s52
	v_add_co_ci_u32_e64 v113, null, s53, v42, vcc_lo
	.loc	1 103 21                        ; attention_bwd.py:103:21 @[ attention_bwd.py:253:40 ]
	global_load_u16 v119, v[112:113], off
	.loc	1 121 19                        ; attention_bwd.py:121:19 @[ attention_bwd.py:253:40 ]
	v_add_co_u32 v112, vcc_lo, v46, s52
	s_delay_alu instid0(VALU_DEP_1)
	v_add_co_ci_u32_e64 v113, null, s53, v167, vcc_lo
	.loc	1 103 21                        ; attention_bwd.py:103:21 @[ attention_bwd.py:253:40 ]
	global_load_u16 v120, v[112:113], off
	.loc	1 121 19                        ; attention_bwd.py:121:19 @[ attention_bwd.py:253:40 ]
	v_add_co_u32 v112, vcc_lo, v165, s52
	s_waitcnt vmcnt(7)
	v_add_co_ci_u32_e64 v113, null, s53, v111, vcc_lo
	.loc	1 103 21                        ; attention_bwd.py:103:21 @[ attention_bwd.py:253:40 ]
	global_load_u16 v121, v[112:113], off
	.loc	1 121 19                        ; attention_bwd.py:121:19 @[ attention_bwd.py:253:40 ]
	v_add_co_u32 v112, vcc_lo, v34, s52
	s_delay_alu instid0(VALU_DEP_1) | instskip(SKIP_2) | instid1(VALU_DEP_1)
	v_add_co_ci_u32_e64 v113, null, s53, v164, vcc_lo
	.loc	1 103 21                        ; attention_bwd.py:103:21 @[ attention_bwd.py:253:40 ]
	global_load_u16 v122, v[112:113], off
	.loc	1 121 19                        ; attention_bwd.py:121:19 @[ attention_bwd.py:253:40 ]
	v_add_co_u32 v112, vcc_lo, v160, s52
	v_add_co_ci_u32_e64 v113, null, s53, v162, vcc_lo
	.loc	1 103 21                        ; attention_bwd.py:103:21 @[ attention_bwd.py:253:40 ]
	global_load_u16 v123, v[112:113], off
	.loc	1 121 19                        ; attention_bwd.py:121:19 @[ attention_bwd.py:253:40 ]
	v_add_co_u32 v112, vcc_lo, v47, s52
	s_delay_alu instid0(VALU_DEP_1) | instskip(SKIP_2) | instid1(VALU_DEP_1)
	v_add_co_ci_u32_e64 v113, null, s53, v32, vcc_lo
	.loc	1 103 21                        ; attention_bwd.py:103:21 @[ attention_bwd.py:253:40 ]
	global_load_u16 v124, v[112:113], off
	.loc	1 121 19                        ; attention_bwd.py:121:19 @[ attention_bwd.py:253:40 ]
	v_add_co_u32 v112, vcc_lo, v35, s52
	;; [unrolled: 11-line block ×4, first 2 shown]
	v_add_co_ci_u32_e64 v113, null, s53, v96, vcc_lo
	.loc	1 103 21                        ; attention_bwd.py:103:21 @[ attention_bwd.py:253:40 ]
	global_load_u16 v112, v[112:113], off
	scratch_load_b32 v113, off, off offset:664 ; 4-byte Folded Reload
	.loc	1 101 25                        ; attention_bwd.py:101:25 @[ attention_bwd.py:253:40 ]
	v_add_co_u32 v45, vcc_lo, v45, s0
	s_delay_alu instid0(VALU_DEP_1) | instskip(SKIP_1) | instid1(VALU_DEP_1)
	v_add_co_ci_u32_e64 v96, null, s1, v96, vcc_lo
	v_add_co_u32 v39, vcc_lo, v39, s0
	v_add_co_ci_u32_e64 v148, null, s1, v148, vcc_lo
	v_add_co_u32 v149, vcc_lo, v149, s0
	s_delay_alu instid0(VALU_DEP_1) | instskip(SKIP_1) | instid1(VALU_DEP_1)
	v_add_co_ci_u32_e64 v41, null, s1, v41, vcc_lo
	v_add_co_u32 v43, vcc_lo, v43, s0
	v_add_co_ci_u32_e64 v37, null, s1, v37, vcc_lo
	v_add_co_u32 v35, vcc_lo, v35, s0
	s_delay_alu instid0(VALU_DEP_1) | instskip(SKIP_1) | instid1(VALU_DEP_1)
	v_add_co_ci_u32_e64 v33, null, s1, v33, vcc_lo
	v_add_co_u32 v47, vcc_lo, v47, s0
	v_add_co_ci_u32_e64 v32, null, s1, v32, vcc_lo
	v_add_co_u32 v160, vcc_lo, v160, s0
	s_delay_alu instid0(VALU_DEP_1) | instskip(SKIP_1) | instid1(VALU_DEP_1)
	v_add_co_ci_u32_e64 v162, null, s1, v162, vcc_lo
	v_add_co_u32 v34, vcc_lo, v34, s0
	v_add_co_ci_u32_e64 v164, null, s1, v164, vcc_lo
	v_add_co_u32 v165, vcc_lo, v165, s0
	s_delay_alu instid0(VALU_DEP_1) | instskip(SKIP_1) | instid1(VALU_DEP_1)
	v_add_co_ci_u32_e64 v111, null, s1, v111, vcc_lo
	v_add_co_u32 v46, vcc_lo, v46, s0
	v_add_co_ci_u32_e64 v167, null, s1, v167, vcc_lo
	v_add_co_u32 v40, vcc_lo, v40, s0
	s_delay_alu instid0(VALU_DEP_1) | instskip(SKIP_1) | instid1(VALU_DEP_1)
	v_add_co_ci_u32_e64 v42, null, s1, v42, vcc_lo
	v_add_co_u32 v44, vcc_lo, v44, s0
	v_add_co_ci_u32_e64 v202, null, s1, v202, vcc_lo
	v_add_co_u32 v103, vcc_lo, v103, s0
	s_delay_alu instid0(VALU_DEP_1) | instskip(SKIP_1) | instid1(VALU_DEP_1)
	v_add_co_ci_u32_e64 v104, null, s1, v104, vcc_lo
	v_add_co_u32 v105, vcc_lo, v105, s0
	v_add_co_ci_u32_e64 v106, null, s1, v106, vcc_lo
	v_add_co_u32 v97, vcc_lo, v97, s0
	s_delay_alu instid0(VALU_DEP_1) | instskip(SKIP_1) | instid1(VALU_DEP_1)
	v_add_co_ci_u32_e64 v98, null, s1, v98, vcc_lo
	v_add_co_u32 v99, vcc_lo, v99, s0
	v_add_co_ci_u32_e64 v100, null, s1, v100, vcc_lo
	.loc	1 102 21                        ; attention_bwd.py:102:21 @[ attention_bwd.py:253:40 ]
	s_waitcnt vmcnt(0)
	s_barrier
	buffer_gl0_inv
	scratch_load_b32 v129, off, off offset:928 ; 4-byte Folded Reload
	ds_store_b16 v255, v177
	ds_store_b16 v255, v178 offset:256
	ds_store_b16 v255, v179 offset:512
	;; [unrolled: 1-line block ×6, first 2 shown]
	.loc	1 103 21                        ; attention_bwd.py:103:21 @[ attention_bwd.py:253:40 ]
	ds_store_b16 v255, v115 offset:4352
	ds_store_b16 v255, v116 offset:4608
	ds_store_b16 v255, v117 offset:4864
	s_clause 0x2                            ; 12-byte Folded Reload
	scratch_load_b32 v115, off, off offset:728
	scratch_load_b32 v116, off, off offset:792
	;; [unrolled: 1-line block ×3, first 2 shown]
	.loc	1 102 21                        ; attention_bwd.py:102:21 @[ attention_bwd.py:253:40 ]
	s_waitcnt vmcnt(3)
	ds_store_b16 v255, v129 offset:1792
	scratch_load_b32 v129, off, off offset:932 ; 4-byte Folded Reload
	s_waitcnt vmcnt(0)
	ds_store_b16 v255, v129 offset:2048
	scratch_load_b32 v129, off, off offset:936 ; 4-byte Folded Reload
	s_waitcnt vmcnt(0)
	ds_store_b16 v255, v129 offset:2304
	scratch_load_b32 v129, off, off offset:940 ; 4-byte Folded Reload
	s_waitcnt vmcnt(0)
	ds_store_b16 v255, v129 offset:2560
	scratch_load_b32 v129, off, off offset:944 ; 4-byte Folded Reload
	s_waitcnt vmcnt(0)
	ds_store_b16 v255, v129 offset:2816
	scratch_load_b32 v129, off, off offset:948 ; 4-byte Folded Reload
	s_waitcnt vmcnt(0)
	ds_store_b16 v255, v129 offset:3072
	scratch_load_b32 v129, off, off offset:952 ; 4-byte Folded Reload
	s_waitcnt vmcnt(0)
	ds_store_b16 v255, v129 offset:3328
	scratch_load_b32 v129, off, off offset:956 ; 4-byte Folded Reload
	s_waitcnt vmcnt(0)
	ds_store_b16 v255, v129 offset:3584
	scratch_load_b32 v129, off, off offset:960 ; 4-byte Folded Reload
	s_waitcnt vmcnt(0)
	ds_store_b16 v255, v129 offset:3840
	.loc	1 103 21                        ; attention_bwd.py:103:21 @[ attention_bwd.py:253:40 ]
	ds_store_b16 v255, v114 offset:4096
	scratch_load_b32 v114, off, off offset:696 ; 4-byte Folded Reload
	ds_store_b16 v255, v118 offset:5120
	ds_store_b16 v255, v119 offset:5376
	;; [unrolled: 1-line block ×12, first 2 shown]
	scratch_load_b32 v112, off, off offset:632 ; 4-byte Folded Reload
	.loc	1 101 25                        ; attention_bwd.py:101:25 @[ attention_bwd.py:253:40 ]
	s_waitcnt vmcnt(0)
	v_add_co_u32 v112, vcc_lo, v112, s0
	s_delay_alu instid0(VALU_DEP_1) | instskip(SKIP_1) | instid1(VALU_DEP_1)
	v_add_co_ci_u32_e64 v113, null, s1, v113, vcc_lo
	v_add_co_u32 v114, vcc_lo, v114, s0
	v_add_co_ci_u32_e64 v115, null, s1, v115, vcc_lo
	v_add_co_u32 v110, vcc_lo, v110, s0
	s_delay_alu instid0(VALU_DEP_1) | instskip(SKIP_1) | instid1(VALU_DEP_1)
	v_add_co_ci_u32_e64 v116, null, s1, v116, vcc_lo
	v_add_co_u32 v109, vcc_lo, v109, s0
	v_add_co_ci_u32_e64 v117, null, s1, v117, vcc_lo
	;; [unrolled: 5-line block ×8, first 2 shown]
	s_cbranch_scc1 .LBB0_118
; %bb.119:                              ; %Flow
	.loc	1 0 25 is_stmt 0                ; attention_bwd.py:0:25
	s_clause 0x14                           ; 204-byte Folded Reload
	scratch_load_b128 v[173:176], off, off offset:1764
	scratch_load_b128 v[177:180], off, off offset:1780
	;; [unrolled: 1-line block ×6, first 2 shown]
	scratch_load_b32 v156, off, off offset:984
	scratch_load_b32 v169, off, off offset:968
	;; [unrolled: 1-line block ×11, first 2 shown]
	scratch_load_b128 v[132:135], off, off offset:128
	scratch_load_b128 v[136:139], off, off offset:144
	;; [unrolled: 1-line block ×4, first 2 shown]
	v_dual_mov_b32 v40, v80 :: v_dual_mov_b32 v41, v81
	v_dual_mov_b32 v42, v82 :: v_dual_mov_b32 v43, v83
	;; [unrolled: 1-line block ×4, first 2 shown]
	s_clause 0x1                            ; 32-byte Folded Spill
	scratch_store_b128 off, v[0:3], off offset:192
	scratch_store_b128 off, v[4:7], off offset:208
.LBB0_120:                              ; %Flow1688
	s_clause 0x14                           ; 84-byte Folded Reload
	scratch_load_b32 v190, off, off offset:1276
	scratch_load_b32 v191, off, off offset:1280
	scratch_load_b32 v20, off, off offset:1284
	scratch_load_b32 v189, off, off offset:1288
	scratch_load_b32 v18, off, off offset:1292
	scratch_load_b32 v17, off, off offset:1296
	scratch_load_b32 v232, off, off offset:1300
	scratch_load_b32 v19, off, off offset:1304
	scratch_load_b32 v21, off, off offset:1312
	scratch_load_b32 v22, off, off offset:1316
	scratch_load_b32 v23, off, off offset:1320
	scratch_load_b32 v248, off, off offset:1324
	scratch_load_b32 v235, off, off offset:1328
	scratch_load_b32 v99, off, off offset:1332
	scratch_load_b32 v100, off, off offset:1336
	scratch_load_b32 v105, off, off offset:1340
	scratch_load_b32 v152, off, off offset:1156
	scratch_load_b32 v153, off, off offset:1160
	scratch_load_b32 v154, off, off offset:1164
	scratch_load_b32 v155, off, off offset:1168
	scratch_load_b32 v156, off, off offset:1172
	v_dual_mov_b32 v208, 0 :: v_dual_mov_b32 v201, 0
	v_dual_mov_b32 v200, 0 :: v_dual_mov_b32 v203, 0
	s_waitcnt vmcnt(29)
	v_dual_mov_b32 v202, 0 :: v_dual_mov_b32 v205, 0
	v_dual_mov_b32 v204, 0 :: v_dual_mov_b32 v207, 0
	s_waitcnt vmcnt(25)
	v_dual_mov_b32 v206, 0 :: v_dual_mov_b32 v217, 0
	v_dual_mov_b32 v216, 0 :: v_dual_mov_b32 v219, 0
	v_dual_mov_b32 v218, 0 :: v_dual_mov_b32 v221, 0
	v_dual_mov_b32 v220, 0 :: v_dual_mov_b32 v223, 0
	v_dual_mov_b32 v222, 0 :: v_dual_mov_b32 v225, 0
	v_dual_mov_b32 v224, 0 :: v_dual_mov_b32 v227, 0
	v_dual_mov_b32 v226, 0 :: v_dual_mov_b32 v229, 0
	v_dual_mov_b32 v228, 0 :: v_dual_mov_b32 v231, 0
	v_dual_mov_b32 v230, 0 :: v_dual_mov_b32 v193, 0
	v_dual_mov_b32 v192, 0 :: v_dual_mov_b32 v195, 0
	v_dual_mov_b32 v194, 0 :: v_dual_mov_b32 v197, 0
	v_dual_mov_b32 v196, 0 :: v_dual_mov_b32 v199, 0
	v_mov_b32_e32 v198, 0
	.loc	1 104 23 is_stmt 1              ; attention_bwd.py:104:23 @[ attention_bwd.py:253:40 ]
	s_and_b32 vcc_lo, exec_lo, s2
	.loc	1 103 21                        ; attention_bwd.py:103:21 @[ attention_bwd.py:253:40 ]
	s_mov_b32 s4, 0
	.loc	1 117 25                        ; attention_bwd.py:117:25 @[ attention_bwd.py:253:40 ]
	s_waitcnt vmcnt(0) lgkmcnt(0)
	s_waitcnt_vscnt null, 0x0
	s_barrier
	buffer_gl0_inv
	s_clause 0x1f                           ; 128-byte Folded Reload
	scratch_load_b32 v101, off, off offset:1240
	scratch_load_b32 v104, off, off offset:1244
	;; [unrolled: 1-line block ×32, first 2 shown]
	s_clause 0xc                            ; 52-byte Folded Reload
	scratch_load_b32 v161, off, off offset:1192
	scratch_load_b32 v162, off, off offset:1196
	;; [unrolled: 1-line block ×13, first 2 shown]
	.loc	1 104 23                        ; attention_bwd.py:104:23 @[ attention_bwd.py:253:40 ]
	s_cbranch_vccnz .LBB0_122
; %bb.121:
	.loc	1 0 23 is_stmt 0                ; attention_bwd.py:0:23
	s_clause 0x1                            ; 32-byte Folded Reload
	scratch_load_b128 v[32:35], off, off offset:1700
	scratch_load_b128 v[36:39], off, off offset:1716
	.loc	1 102 21 is_stmt 1              ; attention_bwd.py:102:21 @[ attention_bwd.py:253:40 ]
	s_waitcnt vmcnt(3)
	ds_load_u16 v7, v172
	ds_load_u16 v6, v168
	;; [unrolled: 1-line block ×16, first 2 shown]
	.loc	1 104 23                        ; attention_bwd.py:104:23 @[ attention_bwd.py:253:40 ]
	s_mov_b32 s11, s4
	s_mov_b32 s5, s4
	;; [unrolled: 1-line block ×7, first 2 shown]
	s_delay_alu instid0(SALU_CYCLE_1)
	v_dual_mov_b32 v199, s11 :: v_dual_mov_b32 v198, s10
	v_dual_mov_b32 v197, s9 :: v_dual_mov_b32 v196, s8
	;; [unrolled: 1-line block ×4, first 2 shown]
	.loc	1 102 21                        ; attention_bwd.py:102:21 @[ attention_bwd.py:253:40 ]
	s_waitcnt lgkmcnt(15)
	ds_load_u16_d16_hi v7, v164
	s_waitcnt lgkmcnt(15)
	ds_load_u16_d16_hi v6, v169
	;; [unrolled: 2-line block ×16, first 2 shown]
	scratch_load_b32 v16, off, off offset:1452 ; 4-byte Folded Reload
	.loc	1 104 23                        ; attention_bwd.py:104:23 @[ attention_bwd.py:253:40 ]
	s_waitcnt vmcnt(1) lgkmcnt(8)
	v_wmma_f32_16x16x16_f16 v[200:207], v[0:7], v[32:39], v[192:199]
	s_waitcnt lgkmcnt(0)
	v_wmma_f32_16x16x16_f16 v[216:223], v[8:15], v[32:39], v[192:199]
	s_clause 0x1                            ; 32-byte Folded Reload
	scratch_load_b128 v[32:35], off, off offset:1668
	scratch_load_b128 v[36:39], off, off offset:1684
	s_waitcnt vmcnt(0)
	v_wmma_f32_16x16x16_f16 v[224:231], v[0:7], v[32:39], v[192:199]
	v_wmma_f32_16x16x16_f16 v[192:199], v[8:15], v[32:39], v[192:199]
	.loc	1 102 21                        ; attention_bwd.py:102:21 @[ attention_bwd.py:253:40 ]
	s_clause 0x1                            ; 8-byte Folded Reload
	scratch_load_b32 v8, off, off offset:1448
	scratch_load_b32 v0, off, off offset:1456
	ds_load_u16 v7, v116
	ds_load_u16 v6, v112
	;; [unrolled: 1-line block ×5, first 2 shown]
	s_clause 0x1                            ; 32-byte Folded Reload
	scratch_load_b128 v[32:35], off, off offset:64
	scratch_load_b128 v[36:39], off, off offset:80
	s_waitcnt lgkmcnt(0)
	ds_load_u16_d16_hi v3, v16
	scratch_load_b32 v16, off, off offset:1468 ; 4-byte Folded Reload
	s_waitcnt vmcnt(4)
	ds_load_u16 v15, v8
	scratch_load_b32 v8, off, off offset:1420 ; 4-byte Folded Reload
	s_waitcnt vmcnt(4)
	ds_load_u16 v2, v0
	s_waitcnt vmcnt(0)
	ds_load_u16 v14, v8
	s_clause 0x1                            ; 8-byte Folded Reload
	scratch_load_b32 v0, off, off offset:1460
	scratch_load_b32 v8, off, off offset:1408
	s_waitcnt vmcnt(1)
	ds_load_u16 v1, v0
	scratch_load_b32 v0, off, off offset:1464 ; 4-byte Folded Reload
	s_waitcnt vmcnt(0)
	ds_load_u16 v0, v0
	s_waitcnt lgkmcnt(3)
	ds_load_u16_d16_hi v2, v16
	s_waitcnt lgkmcnt(2)
	ds_load_u16_d16_hi v1, v106
	;; [unrolled: 2-line block ×3, first 2 shown]
	scratch_load_b32 v16, off, off offset:1400 ; 4-byte Folded Reload
	ds_load_u16 v13, v8
	s_waitcnt vmcnt(0)
	ds_load_u16_d16_hi v15, v16
	s_clause 0x1                            ; 8-byte Folded Reload
	scratch_load_b32 v8, off, off offset:1412
	scratch_load_b32 v16, off, off offset:1424
	s_waitcnt vmcnt(1)
	ds_load_u16 v12, v8
	s_waitcnt vmcnt(0)
	ds_load_u16_d16_hi v14, v16
	s_clause 0x1                            ; 8-byte Folded Reload
	scratch_load_b32 v8, off, off offset:1416
	scratch_load_b32 v16, off, off offset:1432
	s_waitcnt vmcnt(1)
	ds_load_u16 v11, v8
	s_waitcnt vmcnt(0) lgkmcnt(4)
	ds_load_u16_d16_hi v13, v16
	s_clause 0x1                            ; 8-byte Folded Reload
	scratch_load_b32 v16, off, off offset:1440
	scratch_load_b32 v8, off, off offset:1348
	s_waitcnt vmcnt(1) lgkmcnt(3)
	ds_load_u16_d16_hi v12, v16
	s_waitcnt lgkmcnt(2)
	ds_load_u16_d16_hi v11, v215
	scratch_load_b32 v16, off, off offset:1360 ; 4-byte Folded Reload
	s_waitcnt vmcnt(1)
	ds_load_u16 v10, v8
	scratch_load_b32 v8, off, off offset:1352 ; 4-byte Folded Reload
	s_waitcnt vmcnt(1) lgkmcnt(0)
	ds_load_u16_d16_hi v10, v16
	scratch_load_b32 v16, off, off offset:1368 ; 4-byte Folded Reload
	s_waitcnt vmcnt(1)
	ds_load_u16 v9, v8
	scratch_load_b32 v8, off, off offset:1356 ; 4-byte Folded Reload
	s_waitcnt vmcnt(1) lgkmcnt(0)
	ds_load_u16_d16_hi v9, v16
	scratch_load_b32 v16, off, off offset:1376 ; 4-byte Folded Reload
	s_waitcnt vmcnt(1)
	ds_load_u16 v8, v8
	ds_load_u16_d16_hi v7, v108
	ds_load_u16_d16_hi v6, v113
	;; [unrolled: 1-line block ×4, first 2 shown]
	.loc	1 104 23                        ; attention_bwd.py:104:23 @[ attention_bwd.py:253:40 ]
	s_waitcnt lgkmcnt(0)
	v_wmma_f32_16x16x16_f16 v[200:207], v[0:7], v[32:39], v[200:207]
	.loc	1 102 21                        ; attention_bwd.py:102:21 @[ attention_bwd.py:253:40 ]
	s_waitcnt vmcnt(0)
	ds_load_u16_d16_hi v8, v16
	scratch_load_b32 v16, off, off offset:1380 ; 4-byte Folded Reload
	.loc	1 104 23                        ; attention_bwd.py:104:23 @[ attention_bwd.py:253:40 ]
	s_waitcnt lgkmcnt(0)
	v_wmma_f32_16x16x16_f16 v[216:223], v[8:15], v[32:39], v[216:223]
	s_clause 0x1                            ; 32-byte Folded Reload
	scratch_load_b128 v[32:35], off, off offset:32
	scratch_load_b128 v[36:39], off, off offset:48
	s_waitcnt vmcnt(0)
	v_wmma_f32_16x16x16_f16 v[224:231], v[0:7], v[32:39], v[224:231]
	.loc	1 102 21                        ; attention_bwd.py:102:21 @[ attention_bwd.py:253:40 ]
	scratch_load_b32 v0, off, off offset:1444 ; 4-byte Folded Reload
	.loc	1 104 23                        ; attention_bwd.py:104:23 @[ attention_bwd.py:253:40 ]
	v_wmma_f32_16x16x16_f16 v[192:199], v[8:15], v[32:39], v[192:199]
	.loc	1 102 21                        ; attention_bwd.py:102:21 @[ attention_bwd.py:253:40 ]
	s_clause 0x2                            ; 36-byte Folded Reload
	scratch_load_b32 v8, off, off offset:992
	scratch_load_b128 v[32:35], off, off offset:1636
	scratch_load_b128 v[36:39], off, off offset:1652
	s_waitcnt vmcnt(3)
	ds_load_u16 v7, v0
	scratch_load_b32 v0, off, off offset:1396 ; 4-byte Folded Reload
	s_waitcnt lgkmcnt(0)
	ds_load_u16_d16_hi v7, v16
	scratch_load_b32 v16, off, off offset:1404 ; 4-byte Folded Reload
	s_waitcnt vmcnt(1)
	ds_load_u16 v6, v0
	scratch_load_b32 v0, off, off offset:1384 ; 4-byte Folded Reload
	s_waitcnt vmcnt(1) lgkmcnt(0)
	ds_load_u16_d16_hi v6, v16
	scratch_load_b32 v16, off, off offset:1428 ; 4-byte Folded Reload
	s_waitcnt vmcnt(1)
	ds_load_u16 v5, v0
	scratch_load_b32 v0, off, off offset:1388 ; 4-byte Folded Reload
	s_waitcnt vmcnt(1) lgkmcnt(0)
	;; [unrolled: 6-line block ×3, first 2 shown]
	ds_load_u16_d16_hi v4, v16
	scratch_load_b32 v16, off, off offset:1016 ; 4-byte Folded Reload
	ds_load_u16 v9, v8
	ds_load_u16 v8, v252
	s_waitcnt vmcnt(1)
	ds_load_u16 v3, v0
	scratch_load_b32 v0, off, off offset:1020 ; 4-byte Folded Reload
	s_waitcnt vmcnt(1) lgkmcnt(0)
	ds_load_u16_d16_hi v3, v16
	scratch_load_b32 v16, off, off offset:1344 ; 4-byte Folded Reload
	s_waitcnt vmcnt(1)
	ds_load_u16 v2, v0
	scratch_load_b32 v0, off, off offset:1024 ; 4-byte Folded Reload
	s_waitcnt vmcnt(0)
	ds_load_u16 v1, v0
	ds_load_u16 v0, v131
	;; [unrolled: 1-line block ×8, first 2 shown]
	s_waitcnt lgkmcnt(8)
	ds_load_u16_d16_hi v2, v16
	scratch_load_b32 v16, off, off offset:1364 ; 4-byte Folded Reload
	s_waitcnt vmcnt(0) lgkmcnt(8)
	ds_load_u16_d16_hi v1, v16
	scratch_load_b32 v16, off, off offset:1372 ; 4-byte Folded Reload
	s_waitcnt vmcnt(0) lgkmcnt(8)
	ds_load_u16_d16_hi v0, v16
	s_waitcnt lgkmcnt(8)
	ds_load_u16_d16_hi v15, v213
	s_waitcnt lgkmcnt(8)
	;; [unrolled: 2-line block ×6, first 2 shown]
	ds_load_u16_d16_hi v10, v211
	ds_load_u16_d16_hi v9, v189
	;; [unrolled: 1-line block ×3, first 2 shown]
	scratch_load_b32 v16, off, off offset:1008 ; 4-byte Folded Reload
	.loc	1 104 23                        ; attention_bwd.py:104:23 @[ attention_bwd.py:253:40 ]
	s_waitcnt lgkmcnt(8)
	v_wmma_f32_16x16x16_f16 v[200:207], v[0:7], v[32:39], v[200:207]
	s_waitcnt lgkmcnt(0)
	v_wmma_f32_16x16x16_f16 v[216:223], v[8:15], v[32:39], v[216:223]
	s_clause 0x1                            ; 32-byte Folded Reload
	scratch_load_b128 v[32:35], off, off
	scratch_load_b128 v[36:39], off, off offset:16
	s_waitcnt vmcnt(0)
	v_wmma_f32_16x16x16_f16 v[224:231], v[0:7], v[32:39], v[224:231]
	.loc	1 102 21                        ; attention_bwd.py:102:21 @[ attention_bwd.py:253:40 ]
	scratch_load_b32 v0, off, off offset:1012 ; 4-byte Folded Reload
	.loc	1 104 23                        ; attention_bwd.py:104:23 @[ attention_bwd.py:253:40 ]
	v_wmma_f32_16x16x16_f16 v[192:199], v[8:15], v[32:39], v[192:199]
	.loc	1 102 21                        ; attention_bwd.py:102:21 @[ attention_bwd.py:253:40 ]
	scratch_load_b32 v8, off, off offset:968 ; 4-byte Folded Reload
	s_waitcnt vmcnt(1)
	ds_load_u16 v7, v0
	ds_load_u16 v6, v99
	;; [unrolled: 1-line block ×5, first 2 shown]
	scratch_load_b32 v0, off, off offset:996 ; 4-byte Folded Reload
	s_waitcnt lgkmcnt(1)
	ds_load_u16_d16_hi v4, v16
	scratch_load_b32 v16, off, off offset:1000 ; 4-byte Folded Reload
	s_waitcnt vmcnt(1)
	ds_load_u16 v2, v0
	ds_load_u16 v1, v253
	;; [unrolled: 1-line block ×8, first 2 shown]
	s_waitcnt vmcnt(0) lgkmcnt(9)
	ds_load_u16_d16_hi v3, v16
	scratch_load_b32 v16, off, off offset:1004 ; 4-byte Folded Reload
	s_waitcnt vmcnt(0) lgkmcnt(8)
	ds_load_u16_d16_hi v2, v16
	s_waitcnt lgkmcnt(8)
	ds_load_u16_d16_hi v1, v21
	s_waitcnt lgkmcnt(8)
	ds_load_u16_d16_hi v0, v251
	s_waitcnt lgkmcnt(8)
	ds_load_u16_d16_hi v15, v101
	scratch_load_b32 v16, off, off offset:972 ; 4-byte Folded Reload
	s_waitcnt vmcnt(0) lgkmcnt(8)
	ds_load_u16_d16_hi v14, v16
	scratch_load_b32 v16, off, off offset:988 ; 4-byte Folded Reload
	s_waitcnt vmcnt(0) lgkmcnt(8)
	ds_load_u16_d16_hi v13, v16
	s_waitcnt lgkmcnt(8)
	ds_load_u16_d16_hi v12, v98
	scratch_load_b32 v16, off, off offset:964 ; 4-byte Folded Reload
	ds_load_u16 v10, v8
	s_waitcnt vmcnt(0) lgkmcnt(9)
	ds_load_u16_d16_hi v11, v16
	s_clause 0x1                            ; 8-byte Folded Reload
	scratch_load_b32 v8, off, off offset:980
	scratch_load_b32 v16, off, off offset:976
	s_waitcnt vmcnt(1)
	ds_load_u16 v9, v8
	scratch_load_b32 v8, off, off offset:984 ; 4-byte Folded Reload
	s_waitcnt vmcnt(0)
	ds_load_u16 v8, v8
	ds_load_u16_d16_hi v7, v22
	ds_load_u16_d16_hi v6, v100
	;; [unrolled: 1-line block ×3, first 2 shown]
	s_waitcnt lgkmcnt(6)
	ds_load_u16_d16_hi v10, v16
	s_waitcnt lgkmcnt(5)
	ds_load_u16_d16_hi v9, v104
	s_waitcnt lgkmcnt(5)
	ds_load_u16_d16_hi v8, v103
	.loc	1 104 23                        ; attention_bwd.py:104:23 @[ attention_bwd.py:253:40 ]
	s_waitcnt lgkmcnt(3)
	v_wmma_f32_16x16x16_f16 v[200:207], v[0:7], v[140:147], v[200:207]
	v_wmma_f32_16x16x16_f16 v[224:231], v[0:7], v[132:139], v[224:231]
	s_waitcnt lgkmcnt(0)
	v_wmma_f32_16x16x16_f16 v[216:223], v[8:15], v[140:147], v[216:223]
	v_wmma_f32_16x16x16_f16 v[192:199], v[8:15], v[132:139], v[192:199]
.LBB0_122:
	.loc	1 0 23 is_stmt 0                ; attention_bwd.py:0:23
	v_dual_mov_b32 v209, 0 :: v_dual_mov_b32 v210, 0
	v_dual_mov_b32 v211, 0 :: v_dual_mov_b32 v212, 0
	v_dual_mov_b32 v213, 0 :: v_dual_mov_b32 v214, 0
	v_dual_mov_b32 v215, 0 :: v_dual_mov_b32 v136, 0
	v_dual_mov_b32 v137, 0 :: v_dual_mov_b32 v138, 0
	v_dual_mov_b32 v139, 0 :: v_dual_mov_b32 v140, 0
	v_dual_mov_b32 v141, 0 :: v_dual_mov_b32 v142, 0
	v_dual_mov_b32 v143, 0 :: v_dual_mov_b32 v144, 0
	v_dual_mov_b32 v145, 0 :: v_dual_mov_b32 v146, 0
	v_dual_mov_b32 v147, 0 :: v_dual_mov_b32 v148, 0
	v_dual_mov_b32 v149, 0 :: v_dual_mov_b32 v150, 0
	v_dual_mov_b32 v151, 0 :: v_dual_mov_b32 v128, 0
	v_dual_mov_b32 v129, 0 :: v_dual_mov_b32 v130, 0
	v_dual_mov_b32 v131, 0 :: v_dual_mov_b32 v132, 0
	v_dual_mov_b32 v133, 0 :: v_dual_mov_b32 v134, 0
	v_mov_b32_e32 v135, 0
	.loc	1 112 24 is_stmt 1              ; attention_bwd.py:112:24 @[ attention_bwd.py:253:40 ]
	s_and_b32 vcc_lo, exec_lo, s2
	s_cbranch_vccnz .LBB0_124
; %bb.123:
	.loc	1 0 0 is_stmt 0                 ; attention_bwd.py:0 @[ attention_bwd.py:253:40 ]
	s_waitcnt vmcnt(1)
	ds_load_u16 v0, v172 offset:4096
	ds_load_u16 v1, v171 offset:4096
	;; [unrolled: 1-line block ×6, first 2 shown]
	.loc	1 112 24                        ; attention_bwd.py:112:24 @[ attention_bwd.py:253:40 ]
	s_mov_b32 s11, s4
	s_mov_b32 s5, s4
	;; [unrolled: 1-line block ×7, first 2 shown]
	s_delay_alu instid0(SALU_CYCLE_1)
	v_dual_mov_b32 v135, s11 :: v_dual_mov_b32 v134, s10
	v_dual_mov_b32 v133, s9 :: v_dual_mov_b32 v132, s8
	;; [unrolled: 1-line block ×4, first 2 shown]
	.loc	1 0 0                           ; attention_bwd.py:0 @[ attention_bwd.py:253:40 ]
	s_clause 0x1                            ; 8-byte Folded Reload
	scratch_load_b32 v32, off, off offset:992
	scratch_load_b32 v34, off, off offset:996
	s_waitcnt vmcnt(0)
	ds_load_u16 v34, v34 offset:4096
	ds_load_u16 v35, v255 offset:4096
	;; [unrolled: 1-line block ×9, first 2 shown]
	.loc	1 112 24                        ; attention_bwd.py:112:24 @[ attention_bwd.py:253:40 ]
	s_waitcnt lgkmcnt(10)
	v_perm_b32 v7, v4, v0, 0x5040100
	.loc	1 0 0                           ; attention_bwd.py:0 @[ attention_bwd.py:253:40 ]
	ds_load_u16 v0, v165 offset:4096
	.loc	1 112 24                        ; attention_bwd.py:112:24 @[ attention_bwd.py:253:40 ]
	s_waitcnt lgkmcnt(10)
	v_perm_b32 v6, v3, v5, 0x5040100
	s_waitcnt lgkmcnt(0)
	v_perm_b32 v5, v2, v0, 0x5040100
	.loc	1 0 0                           ; attention_bwd.py:0 @[ attention_bwd.py:253:40 ]
	ds_load_u16 v0, v166 offset:4096
	.loc	1 112 24                        ; attention_bwd.py:112:24 @[ attention_bwd.py:253:40 ]
	s_waitcnt lgkmcnt(0)
	v_perm_b32 v4, v1, v0, 0x5040100
	.loc	1 0 0                           ; attention_bwd.py:0 @[ attention_bwd.py:253:40 ]
	ds_load_u16 v0, v167 offset:4096
	ds_load_u16 v8, v163 offset:4096
	;; [unrolled: 1-line block ×5, first 2 shown]
	.loc	1 112 24                        ; attention_bwd.py:112:24 @[ attention_bwd.py:253:40 ]
	s_waitcnt lgkmcnt(0)
	v_perm_b32 v3, v3, v0, 0x5040100
	.loc	1 0 0                           ; attention_bwd.py:0 @[ attention_bwd.py:253:40 ]
	ds_load_u16 v0, v158 offset:4096
	.loc	1 112 24                        ; attention_bwd.py:112:24 @[ attention_bwd.py:253:40 ]
	s_waitcnt lgkmcnt(0)
	v_perm_b32 v2, v2, v0, 0x5040100
	.loc	1 0 0                           ; attention_bwd.py:0 @[ attention_bwd.py:253:40 ]
	ds_load_u16 v0, v159 offset:4096
	;; [unrolled: 5-line block ×4, first 2 shown]
	ds_load_u16 v9, v155 offset:4096
	ds_load_u16 v10, v154 offset:4096
	;; [unrolled: 1-line block ×5, first 2 shown]
	.loc	1 112 24                        ; attention_bwd.py:112:24 @[ attention_bwd.py:253:40 ]
	s_waitcnt lgkmcnt(1)
	v_perm_b32 v15, v12, v8, 0x5040100
	.loc	1 0 0                           ; attention_bwd.py:0 @[ attention_bwd.py:253:40 ]
	ds_load_u16 v8, v125 offset:4096
	.loc	1 112 24                        ; attention_bwd.py:112:24 @[ attention_bwd.py:253:40 ]
	s_waitcnt lgkmcnt(1)
	v_perm_b32 v14, v11, v13, 0x5040100
	s_waitcnt lgkmcnt(0)
	v_perm_b32 v13, v10, v8, 0x5040100
	.loc	1 0 0                           ; attention_bwd.py:0 @[ attention_bwd.py:253:40 ]
	ds_load_u16 v8, v126 offset:4096
	.loc	1 112 24                        ; attention_bwd.py:112:24 @[ attention_bwd.py:253:40 ]
	s_waitcnt lgkmcnt(0)
	v_perm_b32 v12, v9, v8, 0x5040100
	.loc	1 0 0                           ; attention_bwd.py:0 @[ attention_bwd.py:253:40 ]
	ds_load_u16 v8, v127 offset:4096
	ds_load_u16 v16, v123 offset:4096
	;; [unrolled: 1-line block ×5, first 2 shown]
	.loc	1 112 24                        ; attention_bwd.py:112:24 @[ attention_bwd.py:253:40 ]
	s_waitcnt lgkmcnt(0)
	v_perm_b32 v11, v11, v8, 0x5040100
	.loc	1 0 0                           ; attention_bwd.py:0 @[ attention_bwd.py:253:40 ]
	ds_load_u16 v8, v118 offset:4096
	.loc	1 112 24                        ; attention_bwd.py:112:24 @[ attention_bwd.py:253:40 ]
	s_waitcnt lgkmcnt(0)
	v_perm_b32 v10, v10, v8, 0x5040100
	.loc	1 0 0                           ; attention_bwd.py:0 @[ attention_bwd.py:253:40 ]
	ds_load_u16 v8, v119 offset:4096
	;; [unrolled: 5-line block ×3, first 2 shown]
	s_clause 0x1                            ; 32-byte Folded Reload
	scratch_load_b128 v[117:120], off, off offset:1604
	scratch_load_b128 v[121:124], off, off offset:1620
	.loc	1 112 24                        ; attention_bwd.py:112:24 @[ attention_bwd.py:253:40 ]
	s_waitcnt lgkmcnt(0)
	v_perm_b32 v8, v16, v8, 0x5040100
	s_waitcnt vmcnt(0)
	v_wmma_f32_16x16x16_f16 v[208:215], v[0:7], v[117:124], v[128:135]
	s_delay_alu instid0(VALU_DEP_2)
	v_wmma_f32_16x16x16_f16 v[136:143], v[8:15], v[117:124], v[128:135]
	s_clause 0x1                            ; 32-byte Folded Reload
	scratch_load_b128 v[117:120], off, off offset:1572
	scratch_load_b128 v[121:124], off, off offset:1588
	s_waitcnt vmcnt(0)
	v_wmma_f32_16x16x16_f16 v[144:151], v[0:7], v[117:124], v[128:135]
	.loc	1 0 0                           ; attention_bwd.py:0 @[ attention_bwd.py:253:40 ]
	ds_load_u16 v0, v116 offset:4096
	ds_load_u16 v1, v115 offset:4096
	;; [unrolled: 1-line block ×6, first 2 shown]
	.loc	1 112 24                        ; attention_bwd.py:112:24 @[ attention_bwd.py:253:40 ]
	v_wmma_f32_16x16x16_f16 v[128:135], v[8:15], v[117:124], v[128:135]
	.loc	1 0 0                           ; attention_bwd.py:0 @[ attention_bwd.py:253:40 ]
	s_clause 0x4                            ; 20-byte Folded Reload
	scratch_load_b32 v10, off, off offset:1432
	scratch_load_b32 v12, off, off offset:1400
	;; [unrolled: 1-line block ×5, first 2 shown]
	.loc	1 112 24                        ; attention_bwd.py:112:24 @[ attention_bwd.py:253:40 ]
	s_waitcnt lgkmcnt(1)
	v_perm_b32 v7, v4, v0, 0x5040100
	.loc	1 0 0                           ; attention_bwd.py:0 @[ attention_bwd.py:253:40 ]
	ds_load_u16 v0, v109 offset:4096
	.loc	1 112 24                        ; attention_bwd.py:112:24 @[ attention_bwd.py:253:40 ]
	s_waitcnt lgkmcnt(1)
	v_perm_b32 v6, v3, v5, 0x5040100
	.loc	1 0 0                           ; attention_bwd.py:0 @[ attention_bwd.py:253:40 ]
	scratch_load_b32 v3, off, off offset:1452 ; 4-byte Folded Reload
	.loc	1 112 24                        ; attention_bwd.py:112:24 @[ attention_bwd.py:253:40 ]
	s_waitcnt lgkmcnt(0)
	v_perm_b32 v5, v2, v0, 0x5040100
	.loc	1 0 0                           ; attention_bwd.py:0 @[ attention_bwd.py:253:40 ]
	scratch_load_b32 v2, off, off offset:1468 ; 4-byte Folded Reload
	ds_load_u16 v0, v110 offset:4096
	s_waitcnt vmcnt(6)
	ds_load_u16 v10, v10 offset:4096
	s_waitcnt vmcnt(5)
	;; [unrolled: 2-line block ×3, first 2 shown]
	ds_load_u16 v13, v13 offset:4096
	.loc	1 112 24                        ; attention_bwd.py:112:24 @[ attention_bwd.py:253:40 ]
	s_waitcnt lgkmcnt(3)
	v_perm_b32 v4, v1, v0, 0x5040100
	.loc	1 0 0                           ; attention_bwd.py:0 @[ attention_bwd.py:253:40 ]
	ds_load_u16 v0, v111 offset:4096
	ds_load_u16 v8, v107 offset:4096
	;; [unrolled: 1-line block ×3, first 2 shown]
	s_clause 0x1                            ; 32-byte Folded Reload
	scratch_load_b128 v[106:109], off, off offset:1540
	scratch_load_b128 v[110:113], off, off offset:1556
	s_waitcnt vmcnt(3)
	ds_load_u16 v3, v3 offset:4096
	s_waitcnt vmcnt(2)
	ds_load_u16 v2, v2 offset:4096
	.loc	1 112 24                        ; attention_bwd.py:112:24 @[ attention_bwd.py:253:40 ]
	s_waitcnt lgkmcnt(1)
	v_perm_b32 v3, v3, v0, 0x5040100
	.loc	1 0 0                           ; attention_bwd.py:0 @[ attention_bwd.py:253:40 ]
	scratch_load_b32 v0, off, off offset:1456 ; 4-byte Folded Reload
	s_waitcnt vmcnt(0)
	ds_load_u16 v0, v0 offset:4096
	.loc	1 112 24                        ; attention_bwd.py:112:24 @[ attention_bwd.py:253:40 ]
	s_waitcnt lgkmcnt(0)
	v_perm_b32 v2, v2, v0, 0x5040100
	.loc	1 0 0                           ; attention_bwd.py:0 @[ attention_bwd.py:253:40 ]
	scratch_load_b32 v0, off, off offset:1460 ; 4-byte Folded Reload
	s_waitcnt vmcnt(0)
	ds_load_u16 v0, v0 offset:4096
	.loc	1 112 24                        ; attention_bwd.py:112:24 @[ attention_bwd.py:253:40 ]
	s_waitcnt lgkmcnt(0)
	v_perm_b32 v1, v1, v0, 0x5040100
	.loc	1 0 0                           ; attention_bwd.py:0 @[ attention_bwd.py:253:40 ]
	scratch_load_b32 v0, off, off offset:1464 ; 4-byte Folded Reload
	s_waitcnt vmcnt(0)
	ds_load_u16 v0, v0 offset:4096
	.loc	1 112 24                        ; attention_bwd.py:112:24 @[ attention_bwd.py:253:40 ]
	s_waitcnt lgkmcnt(0)
	v_perm_b32 v0, v8, v0, 0x5040100
	.loc	1 0 0                           ; attention_bwd.py:0 @[ attention_bwd.py:253:40 ]
	scratch_load_b32 v8, off, off offset:1448 ; 4-byte Folded Reload
	.loc	1 112 24                        ; attention_bwd.py:112:24 @[ attention_bwd.py:253:40 ]
	v_wmma_f32_16x16x16_f16 v[208:215], v[0:7], v[106:113], v[208:215]
	.loc	1 0 0                           ; attention_bwd.py:0 @[ attention_bwd.py:253:40 ]
	s_waitcnt vmcnt(0)
	ds_load_u16 v8, v8 offset:4096
	.loc	1 112 24                        ; attention_bwd.py:112:24 @[ attention_bwd.py:253:40 ]
	s_waitcnt lgkmcnt(0)
	v_perm_b32 v15, v12, v8, 0x5040100
	.loc	1 0 0                           ; attention_bwd.py:0 @[ attention_bwd.py:253:40 ]
	scratch_load_b32 v8, off, off offset:1408 ; 4-byte Folded Reload
	ds_load_u16 v11, v11 offset:4096
	s_waitcnt vmcnt(0)
	ds_load_u16 v8, v8 offset:4096
	.loc	1 112 24                        ; attention_bwd.py:112:24 @[ attention_bwd.py:253:40 ]
	s_waitcnt lgkmcnt(1)
	v_perm_b32 v14, v11, v13, 0x5040100
	.loc	1 0 0                           ; attention_bwd.py:0 @[ attention_bwd.py:253:40 ]
	scratch_load_b32 v11, off, off offset:1068 ; 4-byte Folded Reload
	.loc	1 112 24                        ; attention_bwd.py:112:24 @[ attention_bwd.py:253:40 ]
	s_waitcnt lgkmcnt(0)
	v_perm_b32 v13, v10, v8, 0x5040100
	.loc	1 0 0                           ; attention_bwd.py:0 @[ attention_bwd.py:253:40 ]
	scratch_load_b32 v8, off, off offset:1412 ; 4-byte Folded Reload
	ds_load_u16 v9, v9 offset:4096
	scratch_load_b32 v10, off, off offset:1360 ; 4-byte Folded Reload
	s_waitcnt vmcnt(2)
	ds_load_u16 v11, v11 offset:4096
	s_waitcnt vmcnt(1)
	ds_load_u16 v8, v8 offset:4096
	;; [unrolled: 2-line block ×3, first 2 shown]
	.loc	1 112 24                        ; attention_bwd.py:112:24 @[ attention_bwd.py:253:40 ]
	s_waitcnt lgkmcnt(1)
	v_perm_b32 v12, v9, v8, 0x5040100
	.loc	1 0 0                           ; attention_bwd.py:0 @[ attention_bwd.py:253:40 ]
	s_clause 0x1                            ; 8-byte Folded Reload
	scratch_load_b32 v8, off, off offset:1416
	scratch_load_b32 v9, off, off offset:1376
	s_waitcnt vmcnt(0)
	ds_load_u16 v16, v9 offset:4096
	scratch_load_b32 v9, off, off offset:1368 ; 4-byte Folded Reload
	ds_load_u16 v8, v8 offset:4096
	.loc	1 112 24                        ; attention_bwd.py:112:24 @[ attention_bwd.py:253:40 ]
	s_waitcnt lgkmcnt(0)
	v_perm_b32 v11, v11, v8, 0x5040100
	.loc	1 0 0                           ; attention_bwd.py:0 @[ attention_bwd.py:253:40 ]
	scratch_load_b32 v8, off, off offset:1348 ; 4-byte Folded Reload
	s_waitcnt vmcnt(1)
	ds_load_u16 v9, v9 offset:4096
	s_waitcnt vmcnt(0)
	ds_load_u16 v8, v8 offset:4096
	.loc	1 112 24                        ; attention_bwd.py:112:24 @[ attention_bwd.py:253:40 ]
	s_waitcnt lgkmcnt(0)
	v_perm_b32 v10, v10, v8, 0x5040100
	.loc	1 0 0                           ; attention_bwd.py:0 @[ attention_bwd.py:253:40 ]
	scratch_load_b32 v8, off, off offset:1352 ; 4-byte Folded Reload
	s_waitcnt vmcnt(0)
	ds_load_u16 v8, v8 offset:4096
	.loc	1 112 24                        ; attention_bwd.py:112:24 @[ attention_bwd.py:253:40 ]
	s_waitcnt lgkmcnt(0)
	v_perm_b32 v9, v9, v8, 0x5040100
	.loc	1 0 0                           ; attention_bwd.py:0 @[ attention_bwd.py:253:40 ]
	scratch_load_b32 v8, off, off offset:1356 ; 4-byte Folded Reload
	;; [unrolled: 7-line block ×3, first 2 shown]
	.loc	1 112 24                        ; attention_bwd.py:112:24 @[ attention_bwd.py:253:40 ]
	v_wmma_f32_16x16x16_f16 v[136:143], v[8:15], v[106:113], v[136:143]
	s_clause 0x1                            ; 32-byte Folded Reload
	scratch_load_b128 v[106:109], off, off offset:1508
	scratch_load_b128 v[110:113], off, off offset:1524
	s_waitcnt vmcnt(0)
	v_wmma_f32_16x16x16_f16 v[144:151], v[0:7], v[106:113], v[144:151]
	.loc	1 0 0                           ; attention_bwd.py:0 @[ attention_bwd.py:253:40 ]
	s_clause 0x5                            ; 24-byte Folded Reload
	scratch_load_b32 v0, off, off offset:1444
	scratch_load_b32 v3, off, off offset:1404
	scratch_load_b32 v2, off, off offset:1428
	scratch_load_b32 v4, off, off offset:1380
	scratch_load_b32 v5, off, off offset:1396
	scratch_load_b32 v1, off, off offset:1436
	.loc	1 112 24                        ; attention_bwd.py:112:24 @[ attention_bwd.py:253:40 ]
	v_wmma_f32_16x16x16_f16 v[128:135], v[8:15], v[106:113], v[128:135]
	.loc	1 0 0                           ; attention_bwd.py:0 @[ attention_bwd.py:253:40 ]
	scratch_load_b32 v9, off, off offset:1008 ; 4-byte Folded Reload
	s_waitcnt vmcnt(0)
	ds_load_u16 v9, v9 offset:4096
	ds_load_u16 v10, v105 offset:4096
	;; [unrolled: 1-line block ×9, first 2 shown]
	s_clause 0x8                            ; 60-byte Folded Reload
	scratch_load_b32 v99, off, off offset:988
	scratch_load_b32 v100, off, off offset:972
	;; [unrolled: 1-line block ×7, first 2 shown]
	scratch_load_b128 v[110:113], off, off offset:1476
	scratch_load_b128 v[114:117], off, off offset:1492
	ds_load_u16 v32, v32 offset:4096
	ds_load_u16 v33, v252 offset:4096
	s_waitcnt vmcnt(7)
	ds_load_u16 v100, v100 offset:4096
	ds_load_u16 v101, v101 offset:4096
	;; [unrolled: 1-line block ×5, first 2 shown]
	.loc	1 112 24                        ; attention_bwd.py:112:24 @[ attention_bwd.py:253:40 ]
	s_waitcnt lgkmcnt(8)
	v_perm_b32 v7, v4, v0, 0x5040100
	.loc	1 0 0                           ; attention_bwd.py:0 @[ attention_bwd.py:253:40 ]
	scratch_load_b32 v0, off, off offset:1384 ; 4-byte Folded Reload
	ds_load_u16 v3, v3 offset:4096
	ds_load_u16 v99, v99 offset:4096
	s_waitcnt vmcnt(5)
	ds_load_u16 v109, v109 offset:4096
	.loc	1 112 24                        ; attention_bwd.py:112:24 @[ attention_bwd.py:253:40 ]
	v_perm_b32 v14, v11, v13, 0x5040100
	.loc	1 0 0                           ; attention_bwd.py:0 @[ attention_bwd.py:253:40 ]
	scratch_load_b32 v11, off, off offset:1000 ; 4-byte Folded Reload
	ds_load_u16 v108, v108 offset:4096
	ds_load_u16 v105, v105 offset:4096
	s_waitcnt vmcnt(5)
	ds_load_u16 v106, v106 offset:4096
	s_waitcnt vmcnt(4)
	ds_load_u16 v107, v107 offset:4096
	.loc	1 112 24                        ; attention_bwd.py:112:24 @[ attention_bwd.py:253:40 ]
	s_waitcnt lgkmcnt(11)
	v_perm_b32 v38, v100, v38, 0x5040100
	s_waitcnt lgkmcnt(10)
	v_perm_b32 v39, v101, v39, 0x5040100
	.loc	1 0 0                           ; attention_bwd.py:0 @[ attention_bwd.py:253:40 ]
	s_waitcnt vmcnt(1)
	ds_load_u16 v0, v0 offset:4096
	.loc	1 112 24                        ; attention_bwd.py:112:24 @[ attention_bwd.py:253:40 ]
	s_waitcnt lgkmcnt(7)
	v_perm_b32 v6, v3, v5, 0x5040100
	.loc	1 0 0                           ; attention_bwd.py:0 @[ attention_bwd.py:253:40 ]
	scratch_load_b32 v3, off, off offset:1016 ; 4-byte Folded Reload
	s_waitcnt vmcnt(1)
	ds_load_u16 v11, v11 offset:4096
	.loc	1 112 24                        ; attention_bwd.py:112:24 @[ attention_bwd.py:253:40 ]
	s_waitcnt lgkmcnt(1)
	v_perm_b32 v5, v2, v0, 0x5040100
	.loc	1 0 0                           ; attention_bwd.py:0 @[ attention_bwd.py:253:40 ]
	scratch_load_b32 v0, off, off offset:1388 ; 4-byte Folded Reload
	ds_load_u16 v1, v1 offset:4096
	scratch_load_b32 v2, off, off offset:1344 ; 4-byte Folded Reload
	s_waitcnt vmcnt(2)
	ds_load_u16 v3, v3 offset:4096
	s_waitcnt vmcnt(1)
	ds_load_u16 v0, v0 offset:4096
	;; [unrolled: 2-line block ×3, first 2 shown]
	.loc	1 112 24                        ; attention_bwd.py:112:24 @[ attention_bwd.py:253:40 ]
	s_waitcnt lgkmcnt(1)
	v_perm_b32 v4, v1, v0, 0x5040100
	.loc	1 0 0                           ; attention_bwd.py:0 @[ attention_bwd.py:253:40 ]
	s_clause 0x1                            ; 8-byte Folded Reload
	scratch_load_b32 v0, off, off offset:1392
	scratch_load_b32 v1, off, off offset:1372
	s_waitcnt vmcnt(0)
	ds_load_u16 v8, v1 offset:4096
	scratch_load_b32 v1, off, off offset:1364 ; 4-byte Folded Reload
	ds_load_u16 v0, v0 offset:4096
	.loc	1 112 24                        ; attention_bwd.py:112:24 @[ attention_bwd.py:253:40 ]
	s_waitcnt lgkmcnt(0)
	v_perm_b32 v3, v3, v0, 0x5040100
	.loc	1 0 0                           ; attention_bwd.py:0 @[ attention_bwd.py:253:40 ]
	scratch_load_b32 v0, off, off offset:1020 ; 4-byte Folded Reload
	s_waitcnt vmcnt(1)
	ds_load_u16 v1, v1 offset:4096
	s_waitcnt vmcnt(0)
	ds_load_u16 v0, v0 offset:4096
	.loc	1 112 24                        ; attention_bwd.py:112:24 @[ attention_bwd.py:253:40 ]
	s_waitcnt lgkmcnt(0)
	v_perm_b32 v2, v2, v0, 0x5040100
	.loc	1 0 0                           ; attention_bwd.py:0 @[ attention_bwd.py:253:40 ]
	scratch_load_b32 v0, off, off offset:1024 ; 4-byte Folded Reload
	s_waitcnt vmcnt(0)
	ds_load_u16 v0, v0 offset:4096
	.loc	1 112 24                        ; attention_bwd.py:112:24 @[ attention_bwd.py:253:40 ]
	s_waitcnt lgkmcnt(0)
	v_perm_b32 v1, v1, v0, 0x5040100
	.loc	1 0 0                           ; attention_bwd.py:0 @[ attention_bwd.py:253:40 ]
	scratch_load_b32 v0, off, off offset:1064 ; 4-byte Folded Reload
	;; [unrolled: 7-line block ×3, first 2 shown]
	.loc	1 112 24                        ; attention_bwd.py:112:24 @[ attention_bwd.py:253:40 ]
	v_wmma_f32_16x16x16_f16 v[208:215], v[0:7], v[110:117], v[208:215]
	v_wmma_f32_16x16x16_f16 v[144:151], v[0:7], v[181:188], v[144:151]
	.loc	1 0 0                           ; attention_bwd.py:0 @[ attention_bwd.py:253:40 ]
	s_waitcnt vmcnt(0)
	ds_load_u16 v8, v8 offset:4096
	.loc	1 112 24                        ; attention_bwd.py:112:24 @[ attention_bwd.py:253:40 ]
	s_waitcnt lgkmcnt(0)
	v_perm_b32 v15, v12, v8, 0x5040100
	.loc	1 0 0                           ; attention_bwd.py:0 @[ attention_bwd.py:253:40 ]
	ds_load_u16 v8, v23 offset:4096
	.loc	1 112 24                        ; attention_bwd.py:112:24 @[ attention_bwd.py:253:40 ]
	s_waitcnt lgkmcnt(0)
	v_perm_b32 v13, v10, v8, 0x5040100
	.loc	1 0 0                           ; attention_bwd.py:0 @[ attention_bwd.py:253:40 ]
	scratch_load_b32 v10, off, off offset:1004 ; 4-byte Folded Reload
	ds_load_u16 v8, v248 offset:4096
	.loc	1 112 24                        ; attention_bwd.py:112:24 @[ attention_bwd.py:253:40 ]
	s_waitcnt lgkmcnt(0)
	v_perm_b32 v12, v9, v8, 0x5040100
	.loc	1 0 0                           ; attention_bwd.py:0 @[ attention_bwd.py:253:40 ]
	ds_load_u16 v8, v235 offset:4096
	ds_load_u16 v9, v21 offset:4096
	.loc	1 112 24                        ; attention_bwd.py:112:24 @[ attention_bwd.py:253:40 ]
	s_waitcnt lgkmcnt(1)
	v_perm_b32 v11, v11, v8, 0x5040100
	.loc	1 0 0                           ; attention_bwd.py:0 @[ attention_bwd.py:253:40 ]
	ds_load_u16 v8, v17 offset:4096
	ds_load_u16 v16, v16 offset:4096
	;; [unrolled: 1-line block ×4, first 2 shown]
	scratch_load_b32 v19, off, off offset:1044 ; 4-byte Folded Reload
	s_waitcnt vmcnt(0)
	ds_load_u16 v19, v19 offset:4096
	ds_load_u16 v20, v20 offset:4096
	;; [unrolled: 1-line block ×3, first 2 shown]
	.loc	1 112 24                        ; attention_bwd.py:112:24 @[ attention_bwd.py:253:40 ]
	s_waitcnt lgkmcnt(7)
	v_perm_b32 v9, v9, v37, 0x5040100
	v_perm_b32 v37, v99, v97, 0x5040100
	s_waitcnt lgkmcnt(2)
	v_perm_b32 v23, v19, v8, 0x5040100
	.loc	1 0 0                           ; attention_bwd.py:0 @[ attention_bwd.py:253:40 ]
	s_clause 0x1                            ; 8-byte Folded Reload
	scratch_load_b32 v8, off, off offset:1048
	scratch_load_b32 v19, off, off offset:1028
	.loc	1 112 24                        ; attention_bwd.py:112:24 @[ attention_bwd.py:253:40 ]
	s_waitcnt lgkmcnt(1)
	v_perm_b32 v22, v18, v20, 0x5040100
	.loc	1 0 0                           ; attention_bwd.py:0 @[ attention_bwd.py:253:40 ]
	scratch_load_b32 v18, off, off offset:1036 ; 4-byte Folded Reload
	s_waitcnt vmcnt(2)
	ds_load_u16 v8, v8 offset:4096
	s_waitcnt vmcnt(1)
	ds_load_u16 v19, v19 offset:4096
	.loc	1 112 24                        ; attention_bwd.py:112:24 @[ attention_bwd.py:253:40 ]
	s_waitcnt lgkmcnt(2)
	v_perm_b32 v10, v10, v34, 0x5040100
	.loc	1 0 0                           ; attention_bwd.py:0 @[ attention_bwd.py:253:40 ]
	s_waitcnt vmcnt(0)
	ds_load_u16 v18, v18 offset:4096
	.loc	1 112 24                        ; attention_bwd.py:112:24 @[ attention_bwd.py:253:40 ]
	v_perm_b32 v34, v105, v107, 0x5040100
	s_waitcnt lgkmcnt(2)
	v_perm_b32 v21, v17, v8, 0x5040100
	.loc	1 0 0                           ; attention_bwd.py:0 @[ attention_bwd.py:253:40 ]
	ds_load_u16 v8, v190 offset:4096
	.loc	1 112 24                        ; attention_bwd.py:112:24 @[ attention_bwd.py:253:40 ]
	s_waitcnt lgkmcnt(0)
	v_perm_b32 v20, v16, v8, 0x5040100
	.loc	1 0 0                           ; attention_bwd.py:0 @[ attention_bwd.py:253:40 ]
	ds_load_u16 v8, v191 offset:4096
	ds_load_u16 v16, v232 offset:4096
	;; [unrolled: 1-line block ×3, first 2 shown]
	.loc	1 112 24                        ; attention_bwd.py:112:24 @[ attention_bwd.py:253:40 ]
	s_waitcnt lgkmcnt(2)
	v_perm_b32 v19, v19, v8, 0x5040100
	.loc	1 0 0                           ; attention_bwd.py:0 @[ attention_bwd.py:253:40 ]
	scratch_load_b32 v8, off, off offset:1032 ; 4-byte Folded Reload
	.loc	1 112 24                        ; attention_bwd.py:112:24 @[ attention_bwd.py:253:40 ]
	s_waitcnt lgkmcnt(0)
	v_perm_b32 v17, v17, v32, 0x5040100
	v_perm_b32 v16, v16, v33, 0x5040100
	;; [unrolled: 1-line block ×4, first 2 shown]
	.loc	1 0 0                           ; attention_bwd.py:0 @[ attention_bwd.py:253:40 ]
	s_waitcnt vmcnt(0)
	ds_load_u16 v8, v8 offset:4096
	.loc	1 112 24                        ; attention_bwd.py:112:24 @[ attention_bwd.py:253:40 ]
	s_waitcnt lgkmcnt(0)
	v_perm_b32 v18, v18, v8, 0x5040100
	v_perm_b32 v8, v36, v35, 0x5040100
	;; [unrolled: 1-line block ×4, first 2 shown]
	s_delay_alu instid0(VALU_DEP_4) | instskip(SKIP_3) | instid1(VALU_DEP_4)
	v_wmma_f32_16x16x16_f16 v[136:143], v[16:23], v[110:117], v[136:143]
	v_wmma_f32_16x16x16_f16 v[128:135], v[16:23], v[181:188], v[128:135]
	;; [unrolled: 1-line block ×5, first 2 shown]
	s_delay_alu instid0(VALU_DEP_4)
	v_wmma_f32_16x16x16_f16 v[128:135], v[32:39], v[173:180], v[128:135]
.LBB0_124:
	.loc	1 105 30 is_stmt 1              ; attention_bwd.py:105:30 @[ attention_bwd.py:253:40 ]
	v_dual_sub_f32 v0, v200, v238 :: v_dual_sub_f32 v17, v225, v239
	v_dual_sub_f32 v1, v201, v238 :: v_dual_sub_f32 v16, v224, v239
	;; [unrolled: 1-line block ×16, first 2 shown]
	.loc	1 105 25 is_stmt 0              ; attention_bwd.py:105:25 @[ attention_bwd.py:253:40 ]
	v_exp_f32_e32 v0, v0
	s_waitcnt vmcnt(36)
	v_exp_f32_e32 v96, v2
	v_exp_f32_e32 v97, v3
	;; [unrolled: 1-line block ×31, first 2 shown]
	.loc	1 113 23 is_stmt 1              ; attention_bwd.py:113:23 @[ attention_bwd.py:253:40 ]
	s_waitcnt vmcnt(28)
	v_dual_sub_f32 v2, v208, v236 :: v_dual_sub_f32 v113, v145, v237
	s_waitcnt vmcnt(24)
	v_dual_sub_f32 v4, v210, v236 :: v_dual_sub_f32 v117, v149, v237
	v_dual_sub_f32 v37, v211, v236 :: v_dual_sub_f32 v112, v144, v237
	s_waitcnt vmcnt(22)
	v_dual_sub_f32 v6, v212, v236 :: v_dual_sub_f32 v119, v151, v237
	v_dual_sub_f32 v7, v214, v236 :: v_dual_sub_f32 v116, v148, v237
	v_dual_sub_f32 v39, v215, v236 :: v_dual_sub_f32 v114, v146, v237
	s_waitcnt vmcnt(20)
	v_dual_sub_f32 v104, v136, v236 :: v_dual_sub_f32 v121, v129, v237
	v_dual_sub_f32 v105, v137, v236 :: v_dual_sub_f32 v118, v150, v237
	s_waitcnt vmcnt(16)
	v_dual_sub_f32 v106, v138, v236 :: v_dual_sub_f32 v125, v133, v237
	v_dual_sub_f32 v107, v139, v236 :: v_dual_sub_f32 v120, v128, v237
	;; [unrolled: 3-line block ×3, first 2 shown]
	v_sub_f32_e32 v110, v142, v236
	v_dual_sub_f32 v111, v143, v236 :: v_dual_sub_f32 v124, v132, v237
	v_sub_f32_e32 v126, v134, v237
	v_dual_sub_f32 v36, v209, v236 :: v_dual_sub_f32 v115, v147, v237
	v_dual_sub_f32 v38, v213, v236 :: v_dual_sub_f32 v123, v131, v237
	.loc	1 114 19                        ; attention_bwd.py:114:19 @[ attention_bwd.py:253:40 ]
	v_fma_mixlo_f16 v2, v0, v2, 0
	v_fma_mixlo_f16 v4, v96, v4, 0
	;; [unrolled: 1-line block ×16, first 2 shown]
	v_fma_mixhi_f16 v2, v1, v36, 0
	v_fma_mixhi_f16 v4, v97, v37, 0
	;; [unrolled: 1-line block ×16, first 2 shown]
	s_mov_b32 s0, 0x76543210
	.loc	1 117 25                        ; attention_bwd.py:117:25 @[ attention_bwd.py:253:40 ]
	s_and_b32 vcc_lo, exec_lo, s2
	.loc	1 114 19                        ; attention_bwd.py:114:19 @[ attention_bwd.py:253:40 ]
	v_permlanex16_b32 v17, v2, s0, 0xfedcba98 op_sel:[1,0]
	v_permlanex16_b32 v19, v4, s0, 0xfedcba98 op_sel:[1,0]
	;; [unrolled: 1-line block ×16, first 2 shown]
	.loc	1 117 25                        ; attention_bwd.py:117:25 @[ attention_bwd.py:253:40 ]
	s_cbranch_vccnz .LBB0_152
; %bb.125:
	.loc	1 0 25 is_stmt 0                ; attention_bwd.py:0:25
	s_clause 0x1                            ; 32-byte Folded Reload
	scratch_load_b128 v[202:205], off, off offset:192
	scratch_load_b128 v[206:209], off, off offset:208
	ds_load_b128 v[96:99], v254
	ds_load_b128 v[100:103], v254 offset:16
	ds_load_b128 v[104:107], v254 offset:32
	;; [unrolled: 1-line block ×15, first 2 shown]
	v_dual_mov_b32 v201, v95 :: v_dual_mov_b32 v200, v94
	.loc	1 114 19 is_stmt 1              ; attention_bwd.py:114:19 @[ attention_bwd.py:253:40 ]
	s_waitcnt vmcnt(8)
	v_perm_b32 v167, v39, v16, v250
	v_perm_b32 v166, v39, v16, v249
	;; [unrolled: 1-line block ×21, first 2 shown]
	s_waitcnt vmcnt(3)
	v_perm_b32 v172, v21, v6, v249
	v_perm_b32 v171, v19, v4, v250
	;; [unrolled: 1-line block ×7, first 2 shown]
	v_dual_mov_b32 v199, v93 :: v_dual_mov_b32 v198, v92
	v_dual_mov_b32 v197, v91 :: v_dual_mov_b32 v196, v90
	;; [unrolled: 1-line block ×3, first 2 shown]
	v_perm_b32 v35, v20, v5, v250
	v_perm_b32 v34, v20, v5, v249
	;; [unrolled: 1-line block ×4, first 2 shown]
	.loc	1 117 25                        ; attention_bwd.py:117:25 @[ attention_bwd.py:253:40 ]
	s_waitcnt lgkmcnt(14)
	v_wmma_f32_16x16x16_f16 v[24:31], v[96:103], v[168:175], v[24:31]
	s_waitcnt lgkmcnt(10)
	v_wmma_f32_16x16x16_f16 v[72:79], v[112:119], v[168:175], v[72:79]
	;; [unrolled: 2-line block ×4, first 2 shown]
	v_wmma_f32_16x16x16_f16 v[48:55], v[96:103], v[8:15], v[48:55]
	v_wmma_f32_16x16x16_f16 v[194:201], v[112:119], v[8:15], v[194:201]
	;; [unrolled: 1-line block ×6, first 2 shown]
	s_waitcnt lgkmcnt(0)
	v_wmma_f32_16x16x16_f16 v[56:63], v[152:159], v[32:39], v[56:63]
	v_wmma_f32_16x16x16_f16 v[48:55], v[104:111], v[160:167], v[48:55]
	;; [unrolled: 1-line block ×4, first 2 shown]
	s_waitcnt vmcnt(0)
	v_wmma_f32_16x16x16_f16 v[202:209], v[144:151], v[8:15], v[202:209]
	s_delay_alu instid0(VALU_DEP_1)
	v_wmma_f32_16x16x16_f16 v[202:209], v[152:159], v[160:167], v[202:209]
	s_branch .LBB0_153
.LBB0_126:
	.loc	1 93 49                         ; attention_bwd.py:93:49 @[ attention_bwd.py:253:40 ]
	s_waitcnt vmcnt(44)
	v_add_co_u32 v3, vcc_lo, v17, v103
	s_waitcnt vmcnt(14)
	v_add_co_ci_u32_e64 v4, null, v18, v104, vcc_lo
	.loc	1 102 21                        ; attention_bwd.py:102:21 @[ attention_bwd.py:253:40 ]
	global_load_u16 v3, v[3:4], off
	s_and_b32 vcc_lo, exec_lo, s2
	s_cbranch_vccnz .LBB0_84
.LBB0_127:
	.loc	1 93 49                         ; attention_bwd.py:93:49 @[ attention_bwd.py:253:40 ]
	s_waitcnt vmcnt(14)
	v_add_co_u32 v4, vcc_lo, v17, v105
	s_waitcnt vmcnt(12)
	v_add_co_ci_u32_e64 v5, null, v18, v106, vcc_lo
	.loc	1 102 21                        ; attention_bwd.py:102:21 @[ attention_bwd.py:253:40 ]
	global_load_u16 v2, v[4:5], off
	v_dual_mov_b32 v4, 0 :: v_dual_mov_b32 v5, 0
	s_and_b32 vcc_lo, exec_lo, s2
	s_cbranch_vccnz .LBB0_85
.LBB0_128:
	.loc	1 93 49                         ; attention_bwd.py:93:49 @[ attention_bwd.py:253:40 ]
	v_add_co_u32 v5, vcc_lo, v17, v107
	s_waitcnt vmcnt(11)
	v_add_co_ci_u32_e64 v6, null, v18, v108, vcc_lo
	.loc	1 102 21                        ; attention_bwd.py:102:21 @[ attention_bwd.py:253:40 ]
	global_load_u16 v5, v[5:6], off
	s_and_b32 vcc_lo, exec_lo, s2
	s_clause 0x1                            ; 32-byte Folded Spill
	scratch_store_b128 off, v[9:12], off offset:1476
	scratch_store_b128 off, v[13:16], off offset:1492
	s_cbranch_vccnz .LBB0_86
.LBB0_129:
	.loc	1 93 49                         ; attention_bwd.py:93:49 @[ attention_bwd.py:253:40 ]
	s_waitcnt vmcnt(11)
	v_add_co_u32 v6, vcc_lo, v17, v109
	s_waitcnt vmcnt(10)
	v_add_co_ci_u32_e64 v7, null, v18, v110, vcc_lo
	.loc	1 102 21                        ; attention_bwd.py:102:21 @[ attention_bwd.py:253:40 ]
	global_load_u16 v4, v[6:7], off
	v_dual_mov_b32 v6, 0 :: v_dual_mov_b32 v7, 0
	s_and_b32 vcc_lo, exec_lo, s2
	s_cbranch_vccnz .LBB0_87
.LBB0_130:
	.loc	1 93 49                         ; attention_bwd.py:93:49 @[ attention_bwd.py:253:40 ]
	v_add_co_u32 v9, vcc_lo, v17, v111
	s_delay_alu instid0(VALU_DEP_1)
	v_add_co_ci_u32_e64 v10, null, v18, v112, vcc_lo
	.loc	1 102 21                        ; attention_bwd.py:102:21 @[ attention_bwd.py:253:40 ]
	global_load_u16 v7, v[9:10], off
	s_and_b32 vcc_lo, exec_lo, s2
	s_cbranch_vccnz .LBB0_88
.LBB0_131:
	.loc	1 93 49                         ; attention_bwd.py:93:49 @[ attention_bwd.py:253:40 ]
	v_add_co_u32 v9, vcc_lo, v17, v113
	s_delay_alu instid0(VALU_DEP_1)
	v_add_co_ci_u32_e64 v10, null, v18, v114, vcc_lo
	.loc	1 102 21                        ; attention_bwd.py:102:21 @[ attention_bwd.py:253:40 ]
	global_load_u16 v6, v[9:10], off
	v_dual_mov_b32 v9, 0 :: v_dual_mov_b32 v10, 0
	s_and_b32 vcc_lo, exec_lo, s2
	s_cbranch_vccnz .LBB0_89
.LBB0_132:
	.loc	1 93 49                         ; attention_bwd.py:93:49 @[ attention_bwd.py:253:40 ]
	v_add_co_u32 v10, vcc_lo, v17, v115
	s_delay_alu instid0(VALU_DEP_1)
	v_add_co_ci_u32_e64 v11, null, v18, v116, vcc_lo
	.loc	1 102 21                        ; attention_bwd.py:102:21 @[ attention_bwd.py:253:40 ]
	global_load_u16 v10, v[10:11], off
	s_and_b32 vcc_lo, exec_lo, s2
	s_cbranch_vccnz .LBB0_90
.LBB0_133:
	.loc	1 93 49                         ; attention_bwd.py:93:49 @[ attention_bwd.py:253:40 ]
	v_add_co_u32 v11, vcc_lo, v17, v117
	s_delay_alu instid0(VALU_DEP_1)
	v_add_co_ci_u32_e64 v12, null, v18, v118, vcc_lo
	.loc	1 102 21                        ; attention_bwd.py:102:21 @[ attention_bwd.py:253:40 ]
	global_load_u16 v9, v[11:12], off
	v_dual_mov_b32 v11, 0 :: v_dual_mov_b32 v12, 0
	s_and_b32 vcc_lo, exec_lo, s2
	s_cbranch_vccnz .LBB0_91
.LBB0_134:
	.loc	1 93 49                         ; attention_bwd.py:93:49 @[ attention_bwd.py:253:40 ]
	v_add_co_u32 v12, vcc_lo, v17, v119
	s_delay_alu instid0(VALU_DEP_1)
	v_add_co_ci_u32_e64 v13, null, v18, v120, vcc_lo
	.loc	1 102 21                        ; attention_bwd.py:102:21 @[ attention_bwd.py:253:40 ]
	global_load_u16 v12, v[12:13], off
	s_and_b32 vcc_lo, exec_lo, s2
	s_cbranch_vccnz .LBB0_92
.LBB0_135:
	.loc	1 93 49                         ; attention_bwd.py:93:49 @[ attention_bwd.py:253:40 ]
	v_add_co_u32 v13, vcc_lo, v17, v121
	s_delay_alu instid0(VALU_DEP_1)
	v_add_co_ci_u32_e64 v14, null, v18, v122, vcc_lo
	.loc	1 102 21                        ; attention_bwd.py:102:21 @[ attention_bwd.py:253:40 ]
	global_load_u16 v11, v[13:14], off
	v_dual_mov_b32 v13, 0 :: v_dual_mov_b32 v14, 0
	s_and_b32 vcc_lo, exec_lo, s2
	s_cbranch_vccnz .LBB0_93
.LBB0_136:
	.loc	1 93 49                         ; attention_bwd.py:93:49 @[ attention_bwd.py:253:40 ]
	v_add_co_u32 v14, vcc_lo, v17, v123
	s_delay_alu instid0(VALU_DEP_1)
	v_add_co_ci_u32_e64 v15, null, v18, v124, vcc_lo
	.loc	1 102 21                        ; attention_bwd.py:102:21 @[ attention_bwd.py:253:40 ]
	global_load_u16 v14, v[14:15], off
	s_and_b32 vcc_lo, exec_lo, s2
	s_cbranch_vccnz .LBB0_94
.LBB0_137:
	.loc	1 93 49                         ; attention_bwd.py:93:49 @[ attention_bwd.py:253:40 ]
	v_add_co_u32 v15, vcc_lo, v17, v125
	s_delay_alu instid0(VALU_DEP_1)
	v_add_co_ci_u32_e64 v16, null, v18, v126, vcc_lo
	.loc	1 102 21                        ; attention_bwd.py:102:21 @[ attention_bwd.py:253:40 ]
	global_load_u16 v13, v[15:16], off
	v_dual_mov_b32 v15, 0 :: v_dual_mov_b32 v16, 0
	s_and_b32 vcc_lo, exec_lo, s2
	s_cbranch_vccnz .LBB0_95
.LBB0_138:
	.loc	1 93 49                         ; attention_bwd.py:93:49 @[ attention_bwd.py:253:40 ]
	s_waitcnt vmcnt(9)
	v_add_co_u32 v19, vcc_lo, v17, v127
	s_delay_alu instid0(VALU_DEP_1)
	v_add_co_ci_u32_e64 v20, null, v18, v128, vcc_lo
	.loc	1 102 21                        ; attention_bwd.py:102:21 @[ attention_bwd.py:253:40 ]
	global_load_u16 v16, v[19:20], off
	s_and_b32 vcc_lo, exec_lo, s2
	s_cbranch_vccz .LBB0_96
	s_branch .LBB0_97
.LBB0_139:
	.loc	1 94 49                         ; attention_bwd.py:94:49 @[ attention_bwd.py:253:40 ]
	v_add_co_u32 v18, vcc_lo, v26, v99
	s_waitcnt vmcnt(9)
	v_add_co_ci_u32_e64 v19, null, v27, v100, vcc_lo
	.loc	1 103 21                        ; attention_bwd.py:103:21 @[ attention_bwd.py:253:40 ]
	global_load_u16 v18, v[18:19], off
	s_and_b32 vcc_lo, exec_lo, s2
	s_cbranch_vccnz .LBB0_99
.LBB0_140:
	.loc	1 94 49                         ; attention_bwd.py:94:49 @[ attention_bwd.py:253:40 ]
	s_waitcnt vmcnt(9)
	v_add_co_u32 v19, vcc_lo, v26, v101
	s_delay_alu instid0(VALU_DEP_1)
	v_add_co_ci_u32_e64 v20, null, v27, v102, vcc_lo
	.loc	1 103 21                        ; attention_bwd.py:103:21 @[ attention_bwd.py:253:40 ]
	global_load_u16 v17, v[19:20], off
	v_dual_mov_b32 v19, 0 :: v_dual_mov_b32 v20, 0
	s_and_b32 vcc_lo, exec_lo, s2
	s_cbranch_vccnz .LBB0_100
.LBB0_141:
	.loc	1 94 49                         ; attention_bwd.py:94:49 @[ attention_bwd.py:253:40 ]
	v_add_co_u32 v20, vcc_lo, v26, v103
	s_waitcnt vmcnt(6)
	v_add_co_ci_u32_e64 v21, null, v27, v104, vcc_lo
	.loc	1 103 21                        ; attention_bwd.py:103:21 @[ attention_bwd.py:253:40 ]
	global_load_u16 v20, v[20:21], off
	s_and_b32 vcc_lo, exec_lo, s2
	s_cbranch_vccnz .LBB0_101
.LBB0_142:
	.loc	1 94 49                         ; attention_bwd.py:94:49 @[ attention_bwd.py:253:40 ]
	s_waitcnt vmcnt(6)
	v_add_co_u32 v21, vcc_lo, v26, v105
	s_delay_alu instid0(VALU_DEP_1)
	v_add_co_ci_u32_e64 v22, null, v27, v106, vcc_lo
	.loc	1 103 21                        ; attention_bwd.py:103:21 @[ attention_bwd.py:253:40 ]
	global_load_u16 v19, v[21:22], off
	v_dual_mov_b32 v21, 0 :: v_dual_mov_b32 v22, 0
	s_and_b32 vcc_lo, exec_lo, s2
	s_cbranch_vccnz .LBB0_102
.LBB0_143:
	.loc	1 94 49                         ; attention_bwd.py:94:49 @[ attention_bwd.py:253:40 ]
	v_add_co_u32 v22, vcc_lo, v26, v107
	s_delay_alu instid0(VALU_DEP_1)
	v_add_co_ci_u32_e64 v23, null, v27, v108, vcc_lo
	.loc	1 103 21                        ; attention_bwd.py:103:21 @[ attention_bwd.py:253:40 ]
	global_load_u16 v22, v[22:23], off
	s_and_b32 vcc_lo, exec_lo, s2
	s_cbranch_vccnz .LBB0_103
.LBB0_144:
	.loc	1 94 49                         ; attention_bwd.py:94:49 @[ attention_bwd.py:253:40 ]
	v_add_co_u32 v28, vcc_lo, v26, v109
	s_delay_alu instid0(VALU_DEP_1)
	v_add_co_ci_u32_e64 v29, null, v27, v110, vcc_lo
	.loc	1 103 21                        ; attention_bwd.py:103:21 @[ attention_bwd.py:253:40 ]
	global_load_u16 v21, v[28:29], off
	v_dual_mov_b32 v23, 0 :: v_dual_mov_b32 v32, 0
	s_and_b32 vcc_lo, exec_lo, s2
	s_cbranch_vccnz .LBB0_104
.LBB0_145:
	.loc	1 94 49                         ; attention_bwd.py:94:49 @[ attention_bwd.py:253:40 ]
	v_add_co_u32 v28, vcc_lo, v26, v111
	s_delay_alu instid0(VALU_DEP_1)
	v_add_co_ci_u32_e64 v29, null, v27, v112, vcc_lo
	.loc	1 103 21                        ; attention_bwd.py:103:21 @[ attention_bwd.py:253:40 ]
	global_load_u16 v32, v[28:29], off
	s_and_b32 vcc_lo, exec_lo, s2
	s_clause 0x1                            ; 32-byte Folded Spill
	scratch_store_b128 off, v[34:37], off offset:1540
	scratch_store_b128 off, v[38:41], off offset:1556
	s_cbranch_vccnz .LBB0_105
.LBB0_146:
	.loc	1 94 49                         ; attention_bwd.py:94:49 @[ attention_bwd.py:253:40 ]
	v_add_co_u32 v28, vcc_lo, v26, v113
	s_delay_alu instid0(VALU_DEP_1)
	v_add_co_ci_u32_e64 v29, null, v27, v114, vcc_lo
	.loc	1 103 21                        ; attention_bwd.py:103:21 @[ attention_bwd.py:253:40 ]
	global_load_u16 v23, v[28:29], off
	v_dual_mov_b32 v33, 0 :: v_dual_mov_b32 v34, 0
	s_and_b32 vcc_lo, exec_lo, s2
	s_cbranch_vccnz .LBB0_106
.LBB0_147:
	.loc	1 94 49                         ; attention_bwd.py:94:49 @[ attention_bwd.py:253:40 ]
	v_add_co_u32 v28, vcc_lo, v26, v115
	s_delay_alu instid0(VALU_DEP_1)
	v_add_co_ci_u32_e64 v29, null, v27, v116, vcc_lo
	.loc	1 103 21                        ; attention_bwd.py:103:21 @[ attention_bwd.py:253:40 ]
	global_load_u16 v34, v[28:29], off
	s_and_b32 vcc_lo, exec_lo, s2
	s_cbranch_vccnz .LBB0_107
.LBB0_148:
	.loc	1 94 49                         ; attention_bwd.py:94:49 @[ attention_bwd.py:253:40 ]
	v_add_co_u32 v28, vcc_lo, v26, v117
	s_delay_alu instid0(VALU_DEP_1)
	v_add_co_ci_u32_e64 v29, null, v27, v118, vcc_lo
	.loc	1 103 21                        ; attention_bwd.py:103:21 @[ attention_bwd.py:253:40 ]
	global_load_u16 v33, v[28:29], off
	v_dual_mov_b32 v35, 0 :: v_dual_mov_b32 v36, 0
	s_and_b32 vcc_lo, exec_lo, s2
	s_cbranch_vccnz .LBB0_108
.LBB0_149:
	.loc	1 94 49                         ; attention_bwd.py:94:49 @[ attention_bwd.py:253:40 ]
	v_add_co_u32 v28, vcc_lo, v26, v119
	s_delay_alu instid0(VALU_DEP_1)
	v_add_co_ci_u32_e64 v29, null, v27, v120, vcc_lo
	.loc	1 103 21                        ; attention_bwd.py:103:21 @[ attention_bwd.py:253:40 ]
	global_load_u16 v36, v[28:29], off
	s_and_b32 vcc_lo, exec_lo, s2
	s_cbranch_vccnz .LBB0_109
.LBB0_150:
	.loc	1 94 49                         ; attention_bwd.py:94:49 @[ attention_bwd.py:253:40 ]
	v_add_co_u32 v28, vcc_lo, v26, v121
	s_delay_alu instid0(VALU_DEP_1)
	v_add_co_ci_u32_e64 v29, null, v27, v122, vcc_lo
	.loc	1 103 21                        ; attention_bwd.py:103:21 @[ attention_bwd.py:253:40 ]
	global_load_u16 v35, v[28:29], off
	v_dual_mov_b32 v37, 0 :: v_dual_mov_b32 v38, 0
	s_and_b32 vcc_lo, exec_lo, s2
	s_cbranch_vccnz .LBB0_110
.LBB0_151:
	.loc	1 94 49                         ; attention_bwd.py:94:49 @[ attention_bwd.py:253:40 ]
	v_add_co_u32 v28, vcc_lo, v26, v123
	s_delay_alu instid0(VALU_DEP_1)
	v_add_co_ci_u32_e64 v29, null, v27, v124, vcc_lo
	.loc	1 103 21                        ; attention_bwd.py:103:21 @[ attention_bwd.py:253:40 ]
	global_load_u16 v38, v[28:29], off
	s_and_b32 vcc_lo, exec_lo, s2
	s_cbranch_vccz .LBB0_111
	s_branch .LBB0_112
.Ltmp52:
.LBB0_152:
	.loc	1 0 21 is_stmt 0                ; attention_bwd.py:0:21
	s_clause 0x1                            ; 32-byte Folded Reload
	scratch_load_b128 v[202:205], off, off offset:192
	scratch_load_b128 v[206:209], off, off offset:208
	v_dual_mov_b32 v201, v95 :: v_dual_mov_b32 v200, v94
	v_dual_mov_b32 v199, v93 :: v_dual_mov_b32 v198, v92
	;; [unrolled: 1-line block ×4, first 2 shown]
.LBB0_153:                              ; %._crit_edge371
	scratch_load_b64 v[0:1], off, off offset:2756 ; 8-byte Folded Reload
	.loc	1 152 10 is_stmt 1              ; attention_bwd.py:152:10
	s_add_u32 s0, s44, s52
	s_addc_u32 s1, s45, s53
	s_clause 0x1f                           ; 256-byte Folded Reload
	scratch_load_b64 v[128:129], off, off offset:1860
	scratch_load_b64 v[130:131], off, off offset:2508
	;; [unrolled: 1-line block ×32, first 2 shown]
	.loc	1 257 19                        ; attention_bwd.py:257:19
	s_waitcnt vmcnt(32)
	v_add_co_u32 v126, vcc_lo, s0, v0
	s_delay_alu instid0(VALU_DEP_1) | instskip(SKIP_3) | instid1(VALU_DEP_1)
	v_add_co_ci_u32_e64 v127, null, s1, v1, vcc_lo
	scratch_load_b64 v[0:1], off, off offset:2764 ; 8-byte Folded Reload
	s_waitcnt vmcnt(0)
	v_add_co_u32 v190, vcc_lo, s0, v0
	v_add_co_ci_u32_e64 v191, null, s1, v1, vcc_lo
	.loc	1 257 50 is_stmt 0              ; attention_bwd.py:257:50
	v_add_co_u32 v0, vcc_lo, v126, v128
	s_delay_alu instid0(VALU_DEP_1) | instskip(SKIP_1) | instid1(VALU_DEP_1)
	v_add_co_ci_u32_e64 v1, null, v127, v129, vcc_lo
	v_add_co_u32 v2, vcc_lo, v126, v130
	v_add_co_ci_u32_e64 v3, null, v127, v131, vcc_lo
	v_add_co_u32 v4, vcc_lo, v126, v132
	s_delay_alu instid0(VALU_DEP_1) | instskip(SKIP_1) | instid1(VALU_DEP_1)
	v_add_co_ci_u32_e64 v5, null, v127, v133, vcc_lo
	v_add_co_u32 v6, vcc_lo, v126, v134
	v_add_co_ci_u32_e64 v7, null, v127, v135, vcc_lo
	;; [unrolled: 5-line block ×30, first 2 shown]
	v_add_co_u32 v184, vcc_lo, v190, v184
	s_mov_b32 s0, 0x3f317218
	v_add_co_ci_u32_e64 v185, null, v191, v185, vcc_lo
	v_add_co_u32 v186, vcc_lo, v190, v186
	.loc	1 259 22 is_stmt 1              ; attention_bwd.py:259:22
	v_fma_mixlo_f16 v80, v24, s0, 0
	.loc	1 257 50                        ; attention_bwd.py:257:50
	v_add_co_ci_u32_e64 v187, null, v191, v187, vcc_lo
	v_add_co_u32 v188, vcc_lo, v190, v188
	.loc	1 259 22                        ; attention_bwd.py:259:22
	v_fma_mixlo_f16 v81, v25, s0, 0
	v_fma_mixlo_f16 v82, v26, s0, 0
	.loc	1 257 50                        ; attention_bwd.py:257:50
	v_add_co_ci_u32_e64 v189, null, v191, v189, vcc_lo
	v_add_co_u32 v190, vcc_lo, v190, v192
	.loc	1 259 22                        ; attention_bwd.py:259:22
	v_fma_mixlo_f16 v83, v27, s0, 0
	v_fma_mixlo_f16 v84, v28, s0, 0
	.loc	1 257 50                        ; attention_bwd.py:257:50
	v_add_co_ci_u32_e64 v191, null, v191, v193, vcc_lo
	.loc	1 259 22                        ; attention_bwd.py:259:22
	v_fma_mixlo_f16 v85, v29, s0, 0
	v_fma_mixlo_f16 v86, v30, s0, 0
	;; [unrolled: 1-line block ×59, first 2 shown]
	s_clause 0x1f
	global_store_b16 v[0:1], v80, off
	global_store_b16 v[2:3], v81, off
	;; [unrolled: 1-line block ×32, first 2 shown]
	s_clause 0x1f
	global_store_b16 v[128:129], v56, off
	global_store_b16 v[130:131], v57, off
	;; [unrolled: 1-line block ×32, first 2 shown]
	.loc	1 259 4 is_stmt 0               ; attention_bwd.py:259:4
	s_nop 0
	s_sendmsg sendmsg(MSG_DEALLOC_VGPRS)
	s_endpgm
.Ltmp53:
	.section	.rodata,"a",@progbits
	.p2align	6, 0x0
	.amdhsa_kernel _attn_bwd
		.amdhsa_group_segment_fixed_size 0
		.amdhsa_private_segment_fixed_size 2820
		.amdhsa_kernarg_size 120
		.amdhsa_user_sgpr_count 14
		.amdhsa_user_sgpr_dispatch_ptr 0
		.amdhsa_user_sgpr_queue_ptr 0
		.amdhsa_user_sgpr_kernarg_segment_ptr 1
		.amdhsa_user_sgpr_dispatch_id 0
		.amdhsa_user_sgpr_private_segment_size 0
		.amdhsa_wavefront_size32 1
		.amdhsa_uses_dynamic_stack 0
		.amdhsa_enable_private_segment 1
		.amdhsa_system_sgpr_workgroup_id_x 1
		.amdhsa_system_sgpr_workgroup_id_y 0
		.amdhsa_system_sgpr_workgroup_id_z 1
		.amdhsa_system_sgpr_workgroup_info 0
		.amdhsa_system_vgpr_workitem_id 0
		.amdhsa_next_free_vgpr 256
		.amdhsa_next_free_sgpr 96
		.amdhsa_reserve_vcc 1
		.amdhsa_float_round_mode_32 0
		.amdhsa_float_round_mode_16_64 0
		.amdhsa_float_denorm_mode_32 3
		.amdhsa_float_denorm_mode_16_64 3
		.amdhsa_dx10_clamp 1
		.amdhsa_ieee_mode 1
		.amdhsa_fp16_overflow 0
		.amdhsa_workgroup_processor_mode 1
		.amdhsa_memory_ordered 1
		.amdhsa_forward_progress 1
		.amdhsa_shared_vgpr_count 0
		.amdhsa_inst_pref_size 63
		.amdhsa_exception_fp_ieee_invalid_op 0
		.amdhsa_exception_fp_denorm_src 0
		.amdhsa_exception_fp_ieee_div_zero 0
		.amdhsa_exception_fp_ieee_overflow 0
		.amdhsa_exception_fp_ieee_underflow 0
		.amdhsa_exception_fp_ieee_inexact 0
		.amdhsa_exception_int_div_zero 0
	.end_amdhsa_kernel
	.text
.Lfunc_end0:
	.size	_attn_bwd, .Lfunc_end0-_attn_bwd
	.cfi_endproc
                                        ; -- End function
	.set _attn_bwd.num_vgpr, 256
	.set _attn_bwd.num_agpr, 0
	.set _attn_bwd.numbered_sgpr, 96
	.set _attn_bwd.num_named_barrier, 0
	.set _attn_bwd.private_seg_size, 2820
	.set _attn_bwd.uses_vcc, 1
	.set _attn_bwd.uses_flat_scratch, 1
	.set _attn_bwd.has_dyn_sized_stack, 0
	.set _attn_bwd.has_recursion, 0
	.set _attn_bwd.has_indirect_call, 0
	.section	.AMDGPU.csdata,"",@progbits
; Kernel info:
; codeLenInByte = 81436
; TotalNumSgprs: 98
; NumVgprs: 256
; ScratchSize: 2820
; MemoryBound: 0
; FloatMode: 240
; IeeeMode: 1
; LDSByteSize: 0 bytes/workgroup (compile time only)
; SGPRBlocks: 0
; VGPRBlocks: 31
; NumSGPRsForWavesPerEU: 98
; NumVGPRsForWavesPerEU: 256
; Occupancy: 5
; WaveLimiterHint : 0
; COMPUTE_PGM_RSRC2:SCRATCH_EN: 1
; COMPUTE_PGM_RSRC2:USER_SGPR: 14
; COMPUTE_PGM_RSRC2:TRAP_HANDLER: 0
; COMPUTE_PGM_RSRC2:TGID_X_EN: 1
; COMPUTE_PGM_RSRC2:TGID_Y_EN: 0
; COMPUTE_PGM_RSRC2:TGID_Z_EN: 1
; COMPUTE_PGM_RSRC2:TIDIG_COMP_CNT: 0
	.text
	.p2alignl 7, 3214868480
	.fill 96, 4, 3214868480
	.section	.AMDGPU.gpr_maximums,"",@progbits
	.set amdgpu.max_num_vgpr, 0
	.set amdgpu.max_num_agpr, 0
	.set amdgpu.max_num_sgpr, 0
	.set amdgpu.max_num_named_barrier, 0
	.text
	.section	.debug_abbrev,"",@progbits
	.byte	1                               ; Abbreviation Code
	.byte	17                              ; DW_TAG_compile_unit
	.byte	1                               ; DW_CHILDREN_yes
	.byte	37                              ; DW_AT_producer
	.byte	14                              ; DW_FORM_strp
	.byte	19                              ; DW_AT_language
	.byte	5                               ; DW_FORM_data2
	.byte	3                               ; DW_AT_name
	.byte	14                              ; DW_FORM_strp
	.byte	16                              ; DW_AT_stmt_list
	.byte	23                              ; DW_FORM_sec_offset
	.byte	27                              ; DW_AT_comp_dir
	.byte	14                              ; DW_FORM_strp
	.byte	17                              ; DW_AT_low_pc
	.byte	1                               ; DW_FORM_addr
	.byte	18                              ; DW_AT_high_pc
	.byte	6                               ; DW_FORM_data4
	.byte	0                               ; EOM(1)
	.byte	0                               ; EOM(2)
	.byte	2                               ; Abbreviation Code
	.byte	46                              ; DW_TAG_subprogram
	.byte	0                               ; DW_CHILDREN_no
	.byte	3                               ; DW_AT_name
	.byte	14                              ; DW_FORM_strp
	.byte	32                              ; DW_AT_inline
	.byte	11                              ; DW_FORM_data1
	.byte	0                               ; EOM(1)
	.byte	0                               ; EOM(2)
	.byte	3                               ; Abbreviation Code
	.byte	46                              ; DW_TAG_subprogram
	.byte	1                               ; DW_CHILDREN_yes
	.byte	17                              ; DW_AT_low_pc
	.byte	1                               ; DW_FORM_addr
	.byte	18                              ; DW_AT_high_pc
	.byte	6                               ; DW_FORM_data4
	.byte	49                              ; DW_AT_abstract_origin
	.byte	19                              ; DW_FORM_ref4
	.byte	0                               ; EOM(1)
	.byte	0                               ; EOM(2)
	.byte	4                               ; Abbreviation Code
	.byte	29                              ; DW_TAG_inlined_subroutine
	.byte	0                               ; DW_CHILDREN_no
	.byte	49                              ; DW_AT_abstract_origin
	.byte	19                              ; DW_FORM_ref4
	.byte	85                              ; DW_AT_ranges
	.byte	23                              ; DW_FORM_sec_offset
	.byte	88                              ; DW_AT_call_file
	.byte	11                              ; DW_FORM_data1
	.byte	89                              ; DW_AT_call_line
	.byte	11                              ; DW_FORM_data1
	.byte	87                              ; DW_AT_call_column
	.byte	11                              ; DW_FORM_data1
	.byte	0                               ; EOM(1)
	.byte	0                               ; EOM(2)
	.byte	0                               ; EOM(3)
	.section	.debug_info,"",@progbits
.Lcu_begin0:
	.long	.Ldebug_info_end0-.Ldebug_info_start0 ; Length of Unit
.Ldebug_info_start0:
	.short	4                               ; DWARF version number
	.long	.debug_abbrev                   ; Offset Into Abbrev. Section
	.byte	8                               ; Address Size (in bytes)
	.byte	1                               ; Abbrev [1] 0xb:0x50 DW_TAG_compile_unit
	.long	.Linfo_string0                  ; DW_AT_producer
	.short	2                               ; DW_AT_language
	.long	.Linfo_string1                  ; DW_AT_name
	.long	.Lline_table_start0             ; DW_AT_stmt_list
	.long	.Linfo_string2                  ; DW_AT_comp_dir
	.quad	.Lfunc_begin0                   ; DW_AT_low_pc
	.long	.Lfunc_end0-.Lfunc_begin0       ; DW_AT_high_pc
	.byte	2                               ; Abbrev [2] 0x2a:0x6 DW_TAG_subprogram
	.long	.Linfo_string3                  ; DW_AT_name
	.byte	1                               ; DW_AT_inline
	.byte	3                               ; Abbrev [3] 0x30:0x2a DW_TAG_subprogram
	.quad	.Lfunc_begin0                   ; DW_AT_low_pc
	.long	.Lfunc_end0-.Lfunc_begin0       ; DW_AT_high_pc
	.long	42                              ; DW_AT_abstract_origin
	.byte	4                               ; Abbrev [4] 0x41:0xc DW_TAG_inlined_subroutine
	.long	42                              ; DW_AT_abstract_origin
	.long	.Ldebug_ranges0                 ; DW_AT_ranges
	.byte	1                               ; DW_AT_call_file
	.byte	200                             ; DW_AT_call_line
	.byte	26                              ; DW_AT_call_column
	.byte	4                               ; Abbrev [4] 0x4d:0xc DW_TAG_inlined_subroutine
	.long	42                              ; DW_AT_abstract_origin
	.long	.Ldebug_ranges1                 ; DW_AT_ranges
	.byte	1                               ; DW_AT_call_file
	.byte	253                             ; DW_AT_call_line
	.byte	40                              ; DW_AT_call_column
	.byte	0                               ; End Of Children Mark
	.byte	0                               ; End Of Children Mark
.Ldebug_info_end0:
	.section	.debug_ranges,"",@progbits
.Ldebug_ranges0:
	.quad	.Ltmp1-.Lfunc_begin0
	.quad	.Ltmp2-.Lfunc_begin0
	;; [unrolled: 1-line block ×46, first 2 shown]
	.quad	0
	.quad	0
.Ldebug_ranges1:
	.quad	.Ltmp47-.Lfunc_begin0
	.quad	.Ltmp48-.Lfunc_begin0
	;; [unrolled: 1-line block ×6, first 2 shown]
	.quad	0
	.quad	0
	.section	.debug_str,"MS",@progbits,1
.Linfo_string0:
	.asciz	"triton"                        ; string offset=0
.Linfo_string1:
	.asciz	"attention_bwd.py"              ; string offset=7
.Linfo_string2:
	.asciz	"/root/src/amdgpu-assembly/repos/triton-lang__triton-aot" ; string offset=24
.Linfo_string3:
	.asciz	"_attn_bwd"                     ; string offset=80
	.section	".note.GNU-stack","",@progbits
	.amdgpu_metadata
---
amdhsa.kernels:
  - .args:
      - .address_space:  global
        .offset:         0
        .size:           8
        .value_kind:     global_buffer
      - .address_space:  global
        .offset:         8
        .size:           8
        .value_kind:     global_buffer
      - .address_space:  global
        .offset:         16
        .size:           8
        .value_kind:     global_buffer
      - .offset:         24
        .size:           4
        .value_kind:     by_value
      - .address_space:  global
        .offset:         32
        .size:           8
        .value_kind:     global_buffer
      - .address_space:  global
        .offset:         40
        .size:           8
        .value_kind:     global_buffer
      - .address_space:  global
        .offset:         48
        .size:           8
        .value_kind:     global_buffer
      - .address_space:  global
        .offset:         56
        .size:           8
        .value_kind:     global_buffer
      - .address_space:  global
        .offset:         64
        .size:           8
        .value_kind:     global_buffer
      - .address_space:  global
        .offset:         72
        .size:           8
        .value_kind:     global_buffer
      - .offset:         80
        .size:           4
        .value_kind:     by_value
      - .offset:         84
        .size:           4
        .value_kind:     by_value
      - .offset:         88
        .size:           4
        .value_kind:     by_value
      - .offset:         92
        .size:           4
        .value_kind:     by_value
      - .offset:         96
        .size:           4
        .value_kind:     by_value
      - .offset:         100
        .size:           4
        .value_kind:     by_value
      - .address_space:  global
        .offset:         104
        .size:           8
        .value_kind:     global_buffer
      - .address_space:  global
        .offset:         112
        .size:           8
        .value_kind:     global_buffer
    .group_segment_fixed_size: 0
    .kernarg_segment_align: 8
    .kernarg_segment_size: 120
    .max_flat_workgroup_size: 128
    .name:           _attn_bwd
    .private_segment_fixed_size: 2820
    .sgpr_count:     98
    .sgpr_spill_count: 0
    .symbol:         _attn_bwd.kd
    .uniform_work_group_size: 1
    .uses_dynamic_stack: false
    .vgpr_count:     256
    .vgpr_spill_count: 1497
    .wavefront_size: 32
    .workgroup_processor_mode: 1
amdhsa.target:   amdgcn-amd-amdhsa--gfx1100
amdhsa.version:
  - 1
  - 2
...

	.end_amdgpu_metadata
	.section	.debug_line,"",@progbits
.Lline_table_start0:
